;; amdgpu-corpus repo=ROCm/rocFFT kind=compiled arch=gfx950 opt=O3
	.text
	.amdgcn_target "amdgcn-amd-amdhsa--gfx950"
	.amdhsa_code_object_version 6
	.protected	fft_rtc_back_len4000_factors_10_10_10_4_wgs_200_tpt_200_halfLds_dp_ip_CI_unitstride_sbrr_C2R_dirReg ; -- Begin function fft_rtc_back_len4000_factors_10_10_10_4_wgs_200_tpt_200_halfLds_dp_ip_CI_unitstride_sbrr_C2R_dirReg
	.globl	fft_rtc_back_len4000_factors_10_10_10_4_wgs_200_tpt_200_halfLds_dp_ip_CI_unitstride_sbrr_C2R_dirReg
	.p2align	8
	.type	fft_rtc_back_len4000_factors_10_10_10_4_wgs_200_tpt_200_halfLds_dp_ip_CI_unitstride_sbrr_C2R_dirReg,@function
fft_rtc_back_len4000_factors_10_10_10_4_wgs_200_tpt_200_halfLds_dp_ip_CI_unitstride_sbrr_C2R_dirReg: ; @fft_rtc_back_len4000_factors_10_10_10_4_wgs_200_tpt_200_halfLds_dp_ip_CI_unitstride_sbrr_C2R_dirReg
; %bb.0:
	s_load_dwordx2 s[8:9], s[0:1], 0x50
	s_load_dwordx4 s[4:7], s[0:1], 0x0
	s_load_dwordx2 s[10:11], s[0:1], 0x18
	v_mul_u32_u24_e32 v1, 0x148, v0
	v_add_u32_sdwa v6, s2, v1 dst_sel:DWORD dst_unused:UNUSED_PAD src0_sel:DWORD src1_sel:WORD_1
	v_mov_b32_e32 v4, 0
	s_waitcnt lgkmcnt(0)
	v_cmp_lt_u64_e64 s[2:3], s[6:7], 2
	v_mov_b32_e32 v7, v4
	s_and_b64 vcc, exec, s[2:3]
	v_mov_b64_e32 v[2:3], 0
	s_cbranch_vccnz .LBB0_8
; %bb.1:
	s_load_dwordx2 s[2:3], s[0:1], 0x10
	s_add_u32 s12, s10, 8
	s_addc_u32 s13, s11, 0
	s_mov_b64 s[14:15], 1
	v_mov_b64_e32 v[2:3], 0
	s_waitcnt lgkmcnt(0)
	s_add_u32 s16, s2, 8
	s_addc_u32 s17, s3, 0
.LBB0_2:                                ; =>This Inner Loop Header: Depth=1
	s_load_dwordx2 s[18:19], s[16:17], 0x0
                                        ; implicit-def: $vgpr8_vgpr9
	s_waitcnt lgkmcnt(0)
	v_or_b32_e32 v5, s19, v7
	v_cmp_ne_u64_e32 vcc, 0, v[4:5]
	s_and_saveexec_b64 s[2:3], vcc
	s_xor_b64 s[20:21], exec, s[2:3]
	s_cbranch_execz .LBB0_4
; %bb.3:                                ;   in Loop: Header=BB0_2 Depth=1
	v_cvt_f32_u32_e32 v1, s18
	v_cvt_f32_u32_e32 v5, s19
	s_sub_u32 s2, 0, s18
	s_subb_u32 s3, 0, s19
	v_fmac_f32_e32 v1, 0x4f800000, v5
	v_rcp_f32_e32 v1, v1
	s_nop 0
	v_mul_f32_e32 v1, 0x5f7ffffc, v1
	v_mul_f32_e32 v5, 0x2f800000, v1
	v_trunc_f32_e32 v5, v5
	v_fmac_f32_e32 v1, 0xcf800000, v5
	v_cvt_u32_f32_e32 v5, v5
	v_cvt_u32_f32_e32 v1, v1
	v_mul_lo_u32 v8, s2, v5
	v_mul_hi_u32 v10, s2, v1
	v_mul_lo_u32 v9, s3, v1
	v_add_u32_e32 v10, v10, v8
	v_mul_lo_u32 v12, s2, v1
	v_add_u32_e32 v13, v10, v9
	v_mul_hi_u32 v8, v1, v12
	v_mul_hi_u32 v11, v1, v13
	v_mul_lo_u32 v10, v1, v13
	v_mov_b32_e32 v9, v4
	v_lshl_add_u64 v[8:9], v[8:9], 0, v[10:11]
	v_mul_hi_u32 v11, v5, v12
	v_mul_lo_u32 v12, v5, v12
	v_add_co_u32_e32 v8, vcc, v8, v12
	v_mul_hi_u32 v10, v5, v13
	s_nop 0
	v_addc_co_u32_e32 v8, vcc, v9, v11, vcc
	v_mov_b32_e32 v9, v4
	s_nop 0
	v_addc_co_u32_e32 v11, vcc, 0, v10, vcc
	v_mul_lo_u32 v10, v5, v13
	v_lshl_add_u64 v[8:9], v[8:9], 0, v[10:11]
	v_add_co_u32_e32 v1, vcc, v1, v8
	v_mul_lo_u32 v10, s2, v1
	s_nop 0
	v_addc_co_u32_e32 v5, vcc, v5, v9, vcc
	v_mul_lo_u32 v8, s2, v5
	v_mul_hi_u32 v9, s2, v1
	v_add_u32_e32 v8, v9, v8
	v_mul_lo_u32 v9, s3, v1
	v_add_u32_e32 v12, v8, v9
	v_mul_hi_u32 v14, v5, v10
	v_mul_lo_u32 v15, v5, v10
	v_mul_hi_u32 v9, v1, v12
	v_mul_lo_u32 v8, v1, v12
	v_mul_hi_u32 v10, v1, v10
	v_mov_b32_e32 v11, v4
	v_lshl_add_u64 v[8:9], v[10:11], 0, v[8:9]
	v_add_co_u32_e32 v8, vcc, v8, v15
	v_mul_hi_u32 v13, v5, v12
	s_nop 0
	v_addc_co_u32_e32 v8, vcc, v9, v14, vcc
	v_mul_lo_u32 v10, v5, v12
	s_nop 0
	v_addc_co_u32_e32 v11, vcc, 0, v13, vcc
	v_mov_b32_e32 v9, v4
	v_lshl_add_u64 v[8:9], v[8:9], 0, v[10:11]
	v_add_co_u32_e32 v1, vcc, v1, v8
	v_mul_hi_u32 v10, v6, v1
	s_nop 0
	v_addc_co_u32_e32 v5, vcc, v5, v9, vcc
	v_mad_u64_u32 v[8:9], s[2:3], v6, v5, 0
	v_mov_b32_e32 v11, v4
	v_lshl_add_u64 v[8:9], v[10:11], 0, v[8:9]
	v_mad_u64_u32 v[12:13], s[2:3], v7, v1, 0
	v_add_co_u32_e32 v1, vcc, v8, v12
	v_mad_u64_u32 v[10:11], s[2:3], v7, v5, 0
	s_nop 0
	v_addc_co_u32_e32 v8, vcc, v9, v13, vcc
	v_mov_b32_e32 v9, v4
	s_nop 0
	v_addc_co_u32_e32 v11, vcc, 0, v11, vcc
	v_lshl_add_u64 v[8:9], v[8:9], 0, v[10:11]
	v_mul_lo_u32 v1, s19, v8
	v_mul_lo_u32 v5, s18, v9
	v_mad_u64_u32 v[10:11], s[2:3], s18, v8, 0
	v_add3_u32 v1, v11, v5, v1
	v_sub_u32_e32 v5, v7, v1
	v_mov_b32_e32 v11, s19
	v_sub_co_u32_e32 v14, vcc, v6, v10
	v_lshl_add_u64 v[12:13], v[8:9], 0, 1
	s_nop 0
	v_subb_co_u32_e64 v5, s[2:3], v5, v11, vcc
	v_subrev_co_u32_e64 v10, s[2:3], s18, v14
	v_subb_co_u32_e32 v1, vcc, v7, v1, vcc
	s_nop 0
	v_subbrev_co_u32_e64 v5, s[2:3], 0, v5, s[2:3]
	v_cmp_le_u32_e64 s[2:3], s19, v5
	v_cmp_le_u32_e32 vcc, s19, v1
	s_nop 0
	v_cndmask_b32_e64 v11, 0, -1, s[2:3]
	v_cmp_le_u32_e64 s[2:3], s18, v10
	s_nop 1
	v_cndmask_b32_e64 v10, 0, -1, s[2:3]
	v_cmp_eq_u32_e64 s[2:3], s19, v5
	s_nop 1
	v_cndmask_b32_e64 v5, v11, v10, s[2:3]
	v_lshl_add_u64 v[10:11], v[8:9], 0, 2
	v_cmp_ne_u32_e64 s[2:3], 0, v5
	s_nop 1
	v_cndmask_b32_e64 v5, v13, v11, s[2:3]
	v_cndmask_b32_e64 v11, 0, -1, vcc
	v_cmp_le_u32_e32 vcc, s18, v14
	s_nop 1
	v_cndmask_b32_e64 v13, 0, -1, vcc
	v_cmp_eq_u32_e32 vcc, s19, v1
	s_nop 1
	v_cndmask_b32_e32 v1, v11, v13, vcc
	v_cmp_ne_u32_e32 vcc, 0, v1
	v_cndmask_b32_e64 v1, v12, v10, s[2:3]
	s_nop 0
	v_cndmask_b32_e32 v9, v9, v5, vcc
	v_cndmask_b32_e32 v8, v8, v1, vcc
.LBB0_4:                                ;   in Loop: Header=BB0_2 Depth=1
	s_andn2_saveexec_b64 s[2:3], s[20:21]
	s_cbranch_execz .LBB0_6
; %bb.5:                                ;   in Loop: Header=BB0_2 Depth=1
	v_cvt_f32_u32_e32 v1, s18
	s_sub_i32 s20, 0, s18
	v_rcp_iflag_f32_e32 v1, v1
	s_nop 0
	v_mul_f32_e32 v1, 0x4f7ffffe, v1
	v_cvt_u32_f32_e32 v1, v1
	v_mul_lo_u32 v5, s20, v1
	v_mul_hi_u32 v5, v1, v5
	v_add_u32_e32 v1, v1, v5
	v_mul_hi_u32 v1, v6, v1
	v_mul_lo_u32 v5, v1, s18
	v_sub_u32_e32 v5, v6, v5
	v_add_u32_e32 v8, 1, v1
	v_subrev_u32_e32 v9, s18, v5
	v_cmp_le_u32_e32 vcc, s18, v5
	s_nop 1
	v_cndmask_b32_e32 v5, v5, v9, vcc
	v_cndmask_b32_e32 v1, v1, v8, vcc
	v_add_u32_e32 v8, 1, v1
	v_cmp_le_u32_e32 vcc, s18, v5
	v_mov_b32_e32 v9, v4
	s_nop 0
	v_cndmask_b32_e32 v8, v1, v8, vcc
.LBB0_6:                                ;   in Loop: Header=BB0_2 Depth=1
	s_or_b64 exec, exec, s[2:3]
	v_mad_u64_u32 v[10:11], s[2:3], v8, s18, 0
	s_load_dwordx2 s[2:3], s[12:13], 0x0
	v_mul_lo_u32 v1, v9, s18
	v_mul_lo_u32 v5, v8, s19
	v_add3_u32 v1, v11, v5, v1
	v_sub_co_u32_e32 v5, vcc, v6, v10
	s_add_u32 s14, s14, 1
	s_nop 0
	v_subb_co_u32_e32 v1, vcc, v7, v1, vcc
	s_addc_u32 s15, s15, 0
	s_waitcnt lgkmcnt(0)
	v_mul_lo_u32 v1, s2, v1
	v_mul_lo_u32 v6, s3, v5
	v_mad_u64_u32 v[2:3], s[2:3], s2, v5, v[2:3]
	s_add_u32 s12, s12, 8
	v_add3_u32 v3, v6, v3, v1
	s_addc_u32 s13, s13, 0
	v_mov_b64_e32 v[6:7], s[6:7]
	s_add_u32 s16, s16, 8
	v_cmp_ge_u64_e32 vcc, s[14:15], v[6:7]
	s_addc_u32 s17, s17, 0
	s_cbranch_vccnz .LBB0_9
; %bb.7:                                ;   in Loop: Header=BB0_2 Depth=1
	v_mov_b64_e32 v[6:7], v[8:9]
	s_branch .LBB0_2
.LBB0_8:
	v_mov_b64_e32 v[8:9], v[6:7]
.LBB0_9:
	s_lshl_b64 s[2:3], s[6:7], 3
	s_add_u32 s2, s10, s2
	s_addc_u32 s3, s11, s3
	s_load_dwordx2 s[6:7], s[2:3], 0x0
	s_load_dwordx2 s[10:11], s[0:1], 0x20
	s_mov_b32 s2, 0x147ae15
	s_waitcnt lgkmcnt(0)
	v_mul_lo_u32 v1, s6, v9
	v_mul_lo_u32 v4, s7, v8
	v_mad_u64_u32 v[2:3], s[0:1], s6, v8, v[2:3]
	v_add3_u32 v3, v4, v3, v1
	v_mul_hi_u32 v1, v0, s2
	v_mul_u32_u24_e32 v1, 0xc8, v1
	v_cmp_gt_u64_e64 s[0:1], s[10:11], v[8:9]
	v_sub_u32_e32 v82, v0, v1
	v_lshl_add_u64 v[80:81], v[2:3], 4, s[8:9]
	s_and_saveexec_b64 s[2:3], s[0:1]
	s_cbranch_execz .LBB0_13
; %bb.10:
	v_mov_b32_e32 v83, 0
	v_lshl_add_u64 v[72:73], v[82:83], 4, v[80:81]
	v_add_co_u32_e32 v16, vcc, 0x1000, v72
	global_load_dwordx4 v[0:3], v[72:73], off
	global_load_dwordx4 v[4:7], v[72:73], off offset:3200
	v_addc_co_u32_e32 v17, vcc, 0, v73, vcc
	v_add_co_u32_e32 v18, vcc, 0x2000, v72
	s_movk_i32 s6, 0xc7
	s_nop 0
	v_addc_co_u32_e32 v19, vcc, 0, v73, vcc
	v_add_co_u32_e32 v24, vcc, 0x3000, v72
	global_load_dwordx4 v[8:11], v[16:17], off offset:2304
	global_load_dwordx4 v[12:15], v[18:19], off offset:1408
	v_addc_co_u32_e32 v25, vcc, 0, v73, vcc
	v_add_co_u32_e32 v32, vcc, 0x4000, v72
	global_load_dwordx4 v[16:19], v[24:25], off offset:512
	global_load_dwordx4 v[20:23], v[24:25], off offset:3712
	v_addc_co_u32_e32 v33, vcc, 0, v73, vcc
	v_add_co_u32_e32 v34, vcc, 0x5000, v72
	s_nop 1
	v_addc_co_u32_e32 v35, vcc, 0, v73, vcc
	v_add_co_u32_e32 v40, vcc, 0x6000, v72
	global_load_dwordx4 v[24:27], v[32:33], off offset:2816
	global_load_dwordx4 v[28:31], v[34:35], off offset:1920
	v_addc_co_u32_e32 v41, vcc, 0, v73, vcc
	v_add_co_u32_e32 v48, vcc, 0x7000, v72
	s_nop 1
	v_addc_co_u32_e32 v49, vcc, 0, v73, vcc
	v_add_co_u32_e32 v50, vcc, 0x8000, v72
	global_load_dwordx4 v[32:35], v[40:41], off offset:1024
	global_load_dwordx4 v[36:39], v[48:49], off offset:128
	v_addc_co_u32_e32 v51, vcc, 0, v73, vcc
	v_add_co_u32_e32 v56, vcc, 0x9000, v72
	global_load_dwordx4 v[40:43], v[48:49], off offset:3328
	global_load_dwordx4 v[44:47], v[50:51], off offset:2432
	v_addc_co_u32_e32 v57, vcc, 0, v73, vcc
	v_add_co_u32_e32 v64, vcc, 0xa000, v72
	s_nop 1
	v_addc_co_u32_e32 v65, vcc, 0, v73, vcc
	v_add_co_u32_e32 v66, vcc, 0xb000, v72
	global_load_dwordx4 v[48:51], v[56:57], off offset:1536
	global_load_dwordx4 v[52:55], v[64:65], off offset:640
	;; [unrolled: 11-line block ×3, first 2 shown]
	v_addc_co_u32_e32 v85, vcc, 0, v73, vcc
	global_load_dwordx4 v[72:75], v[84:85], off offset:256
	global_load_dwordx4 v[76:79], v[84:85], off offset:3456
	v_lshl_add_u32 v84, v82, 4, 0
	v_cmp_eq_u32_e32 vcc, s6, v82
	s_waitcnt vmcnt(19)
	ds_write_b128 v84, v[0:3]
	s_waitcnt vmcnt(18)
	ds_write_b128 v84, v[4:7] offset:3200
	s_waitcnt vmcnt(17)
	ds_write_b128 v84, v[8:11] offset:6400
	;; [unrolled: 2-line block ×19, first 2 shown]
	s_and_saveexec_b64 s[6:7], vcc
	s_cbranch_execz .LBB0_12
; %bb.11:
	v_add_co_u32_e32 v0, vcc, 0xf000, v80
	v_mov_b32_e32 v82, 0xc7
	s_nop 0
	v_addc_co_u32_e32 v1, vcc, 0, v81, vcc
	global_load_dwordx4 v[0:3], v[0:1], off offset:2560
	s_waitcnt vmcnt(0)
	ds_write_b128 v83, v[0:3] offset:64000
.LBB0_12:
	s_or_b64 exec, exec, s[6:7]
.LBB0_13:
	s_or_b64 exec, exec, s[2:3]
	v_lshlrev_b32_e32 v0, 4, v82
	v_add_u32_e32 v102, 0, v0
	s_waitcnt lgkmcnt(0)
	s_barrier
	v_sub_u32_e32 v28, 0, v0
	ds_read_b64 v[2:3], v102
	ds_read_b64 v[4:5], v28 offset:64000
	s_add_u32 s2, s4, 0xf960
	s_addc_u32 s3, s5, 0
	v_cmp_ne_u32_e32 vcc, 0, v82
                                        ; implicit-def: $vgpr0_vgpr1
	s_waitcnt lgkmcnt(0)
	v_add_f64 v[16:17], v[2:3], v[4:5]
	v_add_f64 v[18:19], v[2:3], -v[4:5]
	s_and_saveexec_b64 s[6:7], vcc
	s_xor_b64 s[6:7], exec, s[6:7]
	s_cbranch_execz .LBB0_15
; %bb.14:
	v_mov_b32_e32 v83, 0
	v_lshl_add_u64 v[0:1], v[82:83], 4, s[2:3]
	global_load_dwordx4 v[6:9], v[0:1], off
	ds_read_b64 v[0:1], v28 offset:64008
	ds_read_b64 v[10:11], v102 offset:8
	v_add_f64 v[12:13], v[2:3], v[4:5]
	v_add_f64 v[4:5], v[2:3], -v[4:5]
	s_waitcnt lgkmcnt(0)
	v_add_f64 v[14:15], v[0:1], v[10:11]
	v_add_f64 v[2:3], v[10:11], -v[0:1]
	s_waitcnt vmcnt(0)
	v_fma_f64 v[18:19], v[14:15], v[8:9], v[2:3]
	v_fma_f64 v[0:1], -v[4:5], v[8:9], v[12:13]
	v_fma_f64 v[2:3], v[14:15], v[8:9], -v[2:3]
	v_fma_f64 v[10:11], v[4:5], v[8:9], v[12:13]
	v_fmac_f64_e32 v[0:1], v[14:15], v[6:7]
	v_fmac_f64_e32 v[2:3], v[4:5], v[6:7]
	v_fma_f64 v[16:17], -v[14:15], v[6:7], v[10:11]
	v_fmac_f64_e32 v[18:19], v[4:5], v[6:7]
	ds_write_b128 v28, v[0:3] offset:64000
	v_mov_b64_e32 v[0:1], v[82:83]
.LBB0_15:
	s_andn2_saveexec_b64 s[6:7], s[6:7]
	s_cbranch_execz .LBB0_17
; %bb.16:
	v_mov_b32_e32 v4, 0
	ds_read_b128 v[0:3], v4 offset:32000
	s_waitcnt lgkmcnt(0)
	v_add_f64 v[0:1], v[0:1], v[0:1]
	v_mul_f64 v[2:3], v[2:3], -2.0
	ds_write_b128 v4, v[0:3] offset:32000
	v_mov_b64_e32 v[0:1], 0
.LBB0_17:
	s_or_b64 exec, exec, s[6:7]
	v_lshl_add_u64 v[24:25], v[0:1], 4, s[2:3]
	global_load_dwordx4 v[0:3], v[24:25], off offset:3200
	s_movk_i32 s2, 0x1000
	v_add_co_u32_e32 v4, vcc, s2, v24
	s_movk_i32 s2, 0x2000
	s_nop 0
	v_addc_co_u32_e32 v5, vcc, 0, v25, vcc
	global_load_dwordx4 v[4:7], v[4:5], off offset:2304
	v_add_co_u32_e32 v8, vcc, s2, v24
	s_movk_i32 s20, 0x3000
	s_nop 0
	v_addc_co_u32_e32 v9, vcc, 0, v25, vcc
	global_load_dwordx4 v[8:11], v[8:9], off offset:1408
	v_add_co_u32_e32 v26, vcc, s20, v24
	ds_write_b128 v102, v[16:19]
	s_nop 0
	v_addc_co_u32_e32 v27, vcc, 0, v25, vcc
	global_load_dwordx4 v[12:15], v[26:27], off offset:512
	ds_read_b128 v[16:19], v102 offset:3200
	ds_read_b128 v[20:23], v28 offset:60800
	global_load_dwordx4 v[30:33], v[26:27], off offset:3712
	s_movk_i32 s2, 0x4000
	s_movk_i32 s3, 0x5000
	;; [unrolled: 1-line block ×3, first 2 shown]
	s_waitcnt lgkmcnt(0)
	v_add_f64 v[26:27], v[16:17], v[20:21]
	v_add_f64 v[34:35], v[22:23], v[18:19]
	v_add_f64 v[36:37], v[16:17], -v[20:21]
	v_add_f64 v[16:17], v[18:19], -v[22:23]
	s_movk_i32 s6, 0x7000
	s_mov_b32 s8, 0x134454ff
	s_mov_b32 s9, 0xbfee6f0e
	;; [unrolled: 1-line block ×13, first 2 shown]
	s_movk_i32 s22, 0x90
	v_mad_u32_u24 v83, v82, s22, v102
	s_movk_i32 s22, 0xcd
	s_waitcnt vmcnt(4)
	v_fma_f64 v[38:39], v[36:37], v[2:3], v[26:27]
	v_fma_f64 v[18:19], v[34:35], v[2:3], v[16:17]
	v_fma_f64 v[20:21], -v[36:37], v[2:3], v[26:27]
	v_fma_f64 v[22:23], v[34:35], v[2:3], -v[16:17]
	v_fma_f64 v[16:17], -v[34:35], v[0:1], v[38:39]
	v_fmac_f64_e32 v[18:19], v[36:37], v[0:1]
	v_fmac_f64_e32 v[20:21], v[34:35], v[0:1]
	v_fmac_f64_e32 v[22:23], v[36:37], v[0:1]
	ds_write_b128 v102, v[16:19] offset:3200
	ds_write_b128 v28, v[20:23] offset:60800
	v_add_co_u32_e32 v20, vcc, s2, v24
	ds_read_b128 v[0:3], v102 offset:6400
	ds_read_b128 v[16:19], v28 offset:57600
	v_addc_co_u32_e32 v21, vcc, 0, v25, vcc
	global_load_dwordx4 v[20:23], v[20:21], off offset:2816
	s_mov_b32 s2, s10
	s_waitcnt lgkmcnt(0)
	v_add_f64 v[26:27], v[0:1], v[16:17]
	v_add_f64 v[34:35], v[18:19], v[2:3]
	v_add_f64 v[36:37], v[0:1], -v[16:17]
	v_add_f64 v[0:1], v[2:3], -v[18:19]
	s_waitcnt vmcnt(4)
	v_fma_f64 v[38:39], v[36:37], v[6:7], v[26:27]
	v_fma_f64 v[2:3], v[34:35], v[6:7], v[0:1]
	v_fma_f64 v[16:17], -v[36:37], v[6:7], v[26:27]
	v_fma_f64 v[18:19], v[34:35], v[6:7], -v[0:1]
	v_fma_f64 v[0:1], -v[34:35], v[4:5], v[38:39]
	v_fmac_f64_e32 v[2:3], v[36:37], v[4:5]
	v_fmac_f64_e32 v[16:17], v[34:35], v[4:5]
	;; [unrolled: 1-line block ×3, first 2 shown]
	ds_write_b128 v102, v[0:3] offset:6400
	ds_write_b128 v28, v[16:19] offset:57600
	v_add_co_u32_e32 v16, vcc, s3, v24
	ds_read_b128 v[0:3], v102 offset:9600
	ds_read_b128 v[4:7], v28 offset:54400
	v_addc_co_u32_e32 v17, vcc, 0, v25, vcc
	global_load_dwordx4 v[16:19], v[16:17], off offset:1920
	s_mov_b32 s3, 0x3fe2cf23
	s_waitcnt lgkmcnt(0)
	v_add_f64 v[26:27], v[0:1], v[4:5]
	v_add_f64 v[34:35], v[6:7], v[2:3]
	v_add_f64 v[36:37], v[0:1], -v[4:5]
	v_add_f64 v[0:1], v[2:3], -v[6:7]
	s_waitcnt vmcnt(4)
	v_fma_f64 v[38:39], v[36:37], v[10:11], v[26:27]
	v_fma_f64 v[2:3], v[34:35], v[10:11], v[0:1]
	v_fma_f64 v[4:5], -v[36:37], v[10:11], v[26:27]
	v_fma_f64 v[6:7], v[34:35], v[10:11], -v[0:1]
	v_fma_f64 v[0:1], -v[34:35], v[8:9], v[38:39]
	v_fmac_f64_e32 v[2:3], v[36:37], v[8:9]
	v_fmac_f64_e32 v[4:5], v[34:35], v[8:9]
	;; [unrolled: 1-line block ×3, first 2 shown]
	v_add_co_u32_e32 v8, vcc, s21, v24
	ds_write_b128 v102, v[0:3] offset:9600
	ds_write_b128 v28, v[4:7] offset:54400
	v_addc_co_u32_e32 v9, vcc, 0, v25, vcc
	ds_read_b128 v[0:3], v102 offset:12800
	ds_read_b128 v[4:7], v28 offset:51200
	global_load_dwordx4 v[8:11], v[8:9], off offset:1024
	s_waitcnt lgkmcnt(0)
	v_add_f64 v[26:27], v[0:1], v[4:5]
	v_add_f64 v[34:35], v[6:7], v[2:3]
	v_add_f64 v[36:37], v[0:1], -v[4:5]
	v_add_f64 v[0:1], v[2:3], -v[6:7]
	s_waitcnt vmcnt(4)
	v_fma_f64 v[38:39], v[36:37], v[14:15], v[26:27]
	v_fma_f64 v[2:3], v[34:35], v[14:15], v[0:1]
	v_fma_f64 v[4:5], -v[36:37], v[14:15], v[26:27]
	v_fma_f64 v[6:7], v[34:35], v[14:15], -v[0:1]
	v_fma_f64 v[0:1], -v[34:35], v[12:13], v[38:39]
	v_fmac_f64_e32 v[2:3], v[36:37], v[12:13]
	v_fmac_f64_e32 v[4:5], v[34:35], v[12:13]
	;; [unrolled: 1-line block ×3, first 2 shown]
	v_add_co_u32_e32 v12, vcc, s6, v24
	ds_write_b128 v102, v[0:3] offset:12800
	ds_write_b128 v28, v[4:7] offset:51200
	v_addc_co_u32_e32 v13, vcc, 0, v25, vcc
	ds_read_b128 v[0:3], v102 offset:16000
	ds_read_b128 v[4:7], v28 offset:48000
	global_load_dwordx4 v[12:15], v[12:13], off offset:128
	s_mov_b32 s6, s8
	s_waitcnt lgkmcnt(0)
	v_add_f64 v[24:25], v[0:1], v[4:5]
	v_add_f64 v[26:27], v[6:7], v[2:3]
	v_add_f64 v[4:5], v[0:1], -v[4:5]
	v_add_f64 v[6:7], v[2:3], -v[6:7]
	s_waitcnt vmcnt(4)
	v_fma_f64 v[0:1], v[4:5], v[32:33], v[24:25]
	v_fma_f64 v[2:3], v[26:27], v[32:33], v[6:7]
	v_fma_f64 v[0:1], -v[26:27], v[30:31], v[0:1]
	v_fmac_f64_e32 v[2:3], v[4:5], v[30:31]
	ds_write_b128 v102, v[0:3] offset:16000
	v_fma_f64 v[0:1], -v[4:5], v[32:33], v[24:25]
	v_fma_f64 v[2:3], v[26:27], v[32:33], -v[6:7]
	v_fmac_f64_e32 v[0:1], v[26:27], v[30:31]
	v_fmac_f64_e32 v[2:3], v[4:5], v[30:31]
	ds_write_b128 v28, v[0:3] offset:48000
	ds_read_b128 v[0:3], v102 offset:19200
	ds_read_b128 v[4:7], v28 offset:44800
	s_waitcnt lgkmcnt(0)
	v_add_f64 v[24:25], v[0:1], v[4:5]
	v_add_f64 v[26:27], v[6:7], v[2:3]
	v_add_f64 v[4:5], v[0:1], -v[4:5]
	v_add_f64 v[6:7], v[2:3], -v[6:7]
	s_waitcnt vmcnt(3)
	v_fma_f64 v[0:1], v[4:5], v[22:23], v[24:25]
	v_fma_f64 v[2:3], v[26:27], v[22:23], v[6:7]
	v_fma_f64 v[0:1], -v[26:27], v[20:21], v[0:1]
	v_fmac_f64_e32 v[2:3], v[4:5], v[20:21]
	ds_write_b128 v102, v[0:3] offset:19200
	v_fma_f64 v[0:1], -v[4:5], v[22:23], v[24:25]
	v_fma_f64 v[2:3], v[26:27], v[22:23], -v[6:7]
	v_fmac_f64_e32 v[0:1], v[26:27], v[20:21]
	v_fmac_f64_e32 v[2:3], v[4:5], v[20:21]
	ds_write_b128 v28, v[0:3] offset:44800
	ds_read_b128 v[0:3], v102 offset:22400
	ds_read_b128 v[4:7], v28 offset:41600
	;; [unrolled: 18-line block ×4, first 2 shown]
	s_waitcnt lgkmcnt(0)
	v_add_f64 v[8:9], v[0:1], v[4:5]
	v_add_f64 v[10:11], v[6:7], v[2:3]
	v_add_f64 v[4:5], v[0:1], -v[4:5]
	v_add_f64 v[6:7], v[2:3], -v[6:7]
	s_waitcnt vmcnt(0)
	v_fma_f64 v[0:1], v[4:5], v[14:15], v[8:9]
	v_fma_f64 v[2:3], v[10:11], v[14:15], v[6:7]
	v_fma_f64 v[0:1], -v[10:11], v[12:13], v[0:1]
	v_fmac_f64_e32 v[2:3], v[4:5], v[12:13]
	ds_write_b128 v102, v[0:3] offset:28800
	v_fma_f64 v[0:1], -v[4:5], v[14:15], v[8:9]
	v_fma_f64 v[2:3], v[10:11], v[14:15], -v[6:7]
	v_fmac_f64_e32 v[0:1], v[10:11], v[12:13]
	v_fmac_f64_e32 v[2:3], v[4:5], v[12:13]
	ds_write_b128 v28, v[0:3] offset:35200
	s_waitcnt lgkmcnt(0)
	s_barrier
	s_barrier
	ds_read_b128 v[56:59], v102
	ds_read_b128 v[44:47], v102 offset:6400
	ds_read_b128 v[0:3], v102 offset:3200
	;; [unrolled: 1-line block ×19, first 2 shown]
	s_waitcnt lgkmcnt(14)
	v_add_f64 v[84:85], v[56:57], v[24:25]
	s_waitcnt lgkmcnt(12)
	v_add_f64 v[84:85], v[84:85], v[48:49]
	;; [unrolled: 2-line block ×4, first 2 shown]
	v_add_f64 v[84:85], v[48:49], v[52:53]
	v_fma_f64 v[84:85], -0.5, v[84:85], v[56:57]
	v_add_f64 v[90:91], v[26:27], -v[62:63]
	v_fma_f64 v[88:89], s[8:9], v[90:91], v[84:85]
	v_add_f64 v[92:93], v[50:51], -v[54:55]
	v_add_f64 v[94:95], v[24:25], -v[48:49]
	;; [unrolled: 1-line block ×3, first 2 shown]
	v_fmac_f64_e32 v[84:85], s[6:7], v[90:91]
	v_fmac_f64_e32 v[88:89], s[10:11], v[92:93]
	v_add_f64 v[94:95], v[94:95], v[96:97]
	v_fmac_f64_e32 v[84:85], s[2:3], v[92:93]
	v_fmac_f64_e32 v[88:89], s[12:13], v[94:95]
	;; [unrolled: 1-line block ×3, first 2 shown]
	v_add_f64 v[94:95], v[24:25], v[60:61]
	v_fmac_f64_e32 v[56:57], -0.5, v[94:95]
	v_fma_f64 v[96:97], s[6:7], v[92:93], v[56:57]
	v_fmac_f64_e32 v[56:57], s[8:9], v[92:93]
	v_fmac_f64_e32 v[96:97], s[10:11], v[90:91]
	;; [unrolled: 1-line block ×3, first 2 shown]
	v_add_f64 v[90:91], v[58:59], v[26:27]
	v_add_f64 v[90:91], v[90:91], v[50:51]
	;; [unrolled: 1-line block ×3, first 2 shown]
	v_add_f64 v[94:95], v[48:49], -v[24:25]
	v_add_f64 v[98:99], v[52:53], -v[60:61]
	v_add_f64 v[92:93], v[90:91], v[62:63]
	v_add_f64 v[90:91], v[50:51], v[54:55]
	;; [unrolled: 1-line block ×3, first 2 shown]
	v_fma_f64 v[90:91], -0.5, v[90:91], v[58:59]
	v_add_f64 v[24:25], v[24:25], -v[60:61]
	v_fmac_f64_e32 v[96:97], s[12:13], v[94:95]
	v_fmac_f64_e32 v[56:57], s[12:13], v[94:95]
	v_fma_f64 v[94:95], s[6:7], v[24:25], v[90:91]
	v_add_f64 v[48:49], v[48:49], -v[52:53]
	v_add_f64 v[52:53], v[26:27], -v[50:51]
	;; [unrolled: 1-line block ×3, first 2 shown]
	v_fmac_f64_e32 v[90:91], s[8:9], v[24:25]
	v_fmac_f64_e32 v[94:95], s[2:3], v[48:49]
	v_add_f64 v[52:53], v[52:53], v[60:61]
	v_fmac_f64_e32 v[90:91], s[10:11], v[48:49]
	v_fmac_f64_e32 v[94:95], s[12:13], v[52:53]
	;; [unrolled: 1-line block ×3, first 2 shown]
	v_add_f64 v[52:53], v[26:27], v[62:63]
	v_fmac_f64_e32 v[58:59], -0.5, v[52:53]
	v_fma_f64 v[98:99], s[8:9], v[48:49], v[58:59]
	v_fmac_f64_e32 v[58:59], s[6:7], v[48:49]
	v_fmac_f64_e32 v[98:99], s[2:3], v[24:25]
	;; [unrolled: 1-line block ×3, first 2 shown]
	v_add_f64 v[24:25], v[44:45], v[8:9]
	v_add_f64 v[24:25], v[24:25], v[12:13]
	;; [unrolled: 1-line block ×3, first 2 shown]
	v_add_f64 v[26:27], v[50:51], -v[26:27]
	v_add_f64 v[50:51], v[54:55], -v[62:63]
	s_waitcnt lgkmcnt(2)
	v_add_f64 v[48:49], v[24:25], v[20:21]
	v_add_f64 v[24:25], v[12:13], v[16:17]
	;; [unrolled: 1-line block ×3, first 2 shown]
	v_fma_f64 v[50:51], -0.5, v[24:25], v[44:45]
	v_add_f64 v[24:25], v[10:11], -v[22:23]
	v_fmac_f64_e32 v[98:99], s[12:13], v[26:27]
	v_fmac_f64_e32 v[58:59], s[12:13], v[26:27]
	v_fma_f64 v[26:27], s[8:9], v[24:25], v[50:51]
	v_add_f64 v[52:53], v[14:15], -v[18:19]
	v_add_f64 v[54:55], v[8:9], -v[12:13]
	;; [unrolled: 1-line block ×3, first 2 shown]
	v_fmac_f64_e32 v[50:51], s[6:7], v[24:25]
	v_fmac_f64_e32 v[26:27], s[10:11], v[52:53]
	v_add_f64 v[54:55], v[54:55], v[60:61]
	v_fmac_f64_e32 v[50:51], s[2:3], v[52:53]
	v_fmac_f64_e32 v[26:27], s[12:13], v[54:55]
	;; [unrolled: 1-line block ×3, first 2 shown]
	v_add_f64 v[54:55], v[8:9], v[20:21]
	v_fmac_f64_e32 v[44:45], -0.5, v[54:55]
	v_fma_f64 v[60:61], s[6:7], v[52:53], v[44:45]
	v_fmac_f64_e32 v[44:45], s[8:9], v[52:53]
	v_fmac_f64_e32 v[60:61], s[10:11], v[24:25]
	;; [unrolled: 1-line block ×3, first 2 shown]
	v_add_f64 v[24:25], v[46:47], v[10:11]
	v_add_f64 v[54:55], v[12:13], -v[8:9]
	v_add_f64 v[62:63], v[16:17], -v[20:21]
	v_add_f64 v[24:25], v[24:25], v[14:15]
	v_add_f64 v[54:55], v[54:55], v[62:63]
	;; [unrolled: 1-line block ×3, first 2 shown]
	v_fmac_f64_e32 v[60:61], s[12:13], v[54:55]
	v_fmac_f64_e32 v[44:45], s[12:13], v[54:55]
	v_add_f64 v[54:55], v[24:25], v[22:23]
	v_add_f64 v[24:25], v[14:15], v[18:19]
	v_fma_f64 v[52:53], -0.5, v[24:25], v[46:47]
	v_add_f64 v[8:9], v[8:9], -v[20:21]
	v_fma_f64 v[62:63], s[6:7], v[8:9], v[52:53]
	v_add_f64 v[12:13], v[12:13], -v[16:17]
	v_add_f64 v[16:17], v[10:11], -v[14:15]
	;; [unrolled: 1-line block ×3, first 2 shown]
	v_fmac_f64_e32 v[52:53], s[8:9], v[8:9]
	v_fmac_f64_e32 v[62:63], s[2:3], v[12:13]
	v_add_f64 v[16:17], v[16:17], v[20:21]
	v_fmac_f64_e32 v[52:53], s[10:11], v[12:13]
	v_fmac_f64_e32 v[62:63], s[12:13], v[16:17]
	;; [unrolled: 1-line block ×3, first 2 shown]
	v_add_f64 v[16:17], v[10:11], v[22:23]
	v_fmac_f64_e32 v[46:47], -0.5, v[16:17]
	v_fma_f64 v[100:101], s[8:9], v[12:13], v[46:47]
	v_add_f64 v[10:11], v[14:15], -v[10:11]
	v_add_f64 v[14:15], v[18:19], -v[22:23]
	v_fmac_f64_e32 v[46:47], s[6:7], v[12:13]
	v_add_f64 v[10:11], v[10:11], v[14:15]
	v_fmac_f64_e32 v[46:47], s[10:11], v[8:9]
	v_fmac_f64_e32 v[100:101], s[2:3], v[8:9]
	;; [unrolled: 1-line block ×4, first 2 shown]
	v_mul_f64 v[108:109], v[46:47], s[8:9]
	v_mul_f64 v[110:111], v[52:53], s[10:11]
	;; [unrolled: 1-line block ×5, first 2 shown]
	v_fmac_f64_e32 v[108:109], s[16:17], v[44:45]
	v_fmac_f64_e32 v[110:111], s[14:15], v[50:51]
	v_fmac_f64_e32 v[112:113], s[18:19], v[62:63]
	v_mul_f64 v[62:63], v[100:101], s[12:13]
	v_fmac_f64_e32 v[106:107], s[12:13], v[60:61]
	v_add_f64 v[24:25], v[56:57], v[108:109]
	v_add_f64 v[20:21], v[84:85], v[110:111]
	v_fmac_f64_e32 v[62:63], s[6:7], v[60:61]
	v_add_f64 v[60:61], v[56:57], -v[108:109]
	v_add_f64 v[56:57], v[84:85], -v[110:111]
	v_add_f64 v[84:85], v[0:1], v[64:65]
	v_add_f64 v[84:85], v[84:85], v[68:69]
	v_fmac_f64_e32 v[104:105], s[18:19], v[26:27]
	v_add_f64 v[84:85], v[84:85], v[72:73]
	v_add_f64 v[16:17], v[86:87], v[48:49]
	;; [unrolled: 1-line block ×3, first 2 shown]
	v_mul_f64 v[100:101], v[46:47], s[16:17]
	v_mul_f64 v[114:115], v[52:53], s[14:15]
	v_add_f64 v[52:53], v[86:87], -v[48:49]
	v_add_f64 v[48:49], v[88:89], -v[104:105]
	s_waitcnt lgkmcnt(1)
	v_add_f64 v[88:89], v[84:85], v[76:77]
	v_add_f64 v[84:85], v[68:69], v[72:73]
	v_fmac_f64_e32 v[100:101], s[6:7], v[44:45]
	v_fmac_f64_e32 v[114:115], s[2:3], v[50:51]
	v_fma_f64 v[86:87], -0.5, v[84:85], v[0:1]
	v_add_f64 v[84:85], v[66:67], -v[78:79]
	v_add_f64 v[8:9], v[96:97], v[106:107]
	v_add_f64 v[18:19], v[92:93], v[54:55]
	;; [unrolled: 1-line block ×6, first 2 shown]
	v_add_f64 v[44:45], v[96:97], -v[106:107]
	v_add_f64 v[54:55], v[92:93], -v[54:55]
	;; [unrolled: 1-line block ×6, first 2 shown]
	v_fma_f64 v[92:93], s[8:9], v[84:85], v[86:87]
	v_add_f64 v[90:91], v[70:71], -v[74:75]
	v_add_f64 v[94:95], v[64:65], -v[68:69]
	;; [unrolled: 1-line block ×3, first 2 shown]
	v_fmac_f64_e32 v[86:87], s[6:7], v[84:85]
	v_fmac_f64_e32 v[92:93], s[10:11], v[90:91]
	v_add_f64 v[94:95], v[94:95], v[96:97]
	v_fmac_f64_e32 v[86:87], s[2:3], v[90:91]
	v_fmac_f64_e32 v[92:93], s[12:13], v[94:95]
	;; [unrolled: 1-line block ×3, first 2 shown]
	v_add_f64 v[94:95], v[64:65], v[76:77]
	v_fmac_f64_e32 v[0:1], -0.5, v[94:95]
	v_fma_f64 v[96:97], s[6:7], v[90:91], v[0:1]
	v_fmac_f64_e32 v[0:1], s[8:9], v[90:91]
	v_fmac_f64_e32 v[96:97], s[10:11], v[84:85]
	;; [unrolled: 1-line block ×3, first 2 shown]
	v_add_f64 v[84:85], v[2:3], v[66:67]
	v_add_f64 v[84:85], v[84:85], v[70:71]
	;; [unrolled: 1-line block ×3, first 2 shown]
	v_add_f64 v[94:95], v[68:69], -v[64:65]
	v_add_f64 v[98:99], v[72:73], -v[76:77]
	v_add_f64 v[90:91], v[84:85], v[78:79]
	v_add_f64 v[84:85], v[70:71], v[74:75]
	;; [unrolled: 1-line block ×3, first 2 shown]
	v_fma_f64 v[84:85], -0.5, v[84:85], v[2:3]
	v_add_f64 v[64:65], v[64:65], -v[76:77]
	v_fmac_f64_e32 v[96:97], s[12:13], v[94:95]
	v_fmac_f64_e32 v[0:1], s[12:13], v[94:95]
	v_fma_f64 v[94:95], s[6:7], v[64:65], v[84:85]
	v_add_f64 v[68:69], v[68:69], -v[72:73]
	v_add_f64 v[72:73], v[66:67], -v[70:71]
	;; [unrolled: 1-line block ×3, first 2 shown]
	v_fmac_f64_e32 v[84:85], s[8:9], v[64:65]
	v_fmac_f64_e32 v[94:95], s[2:3], v[68:69]
	v_add_f64 v[72:73], v[72:73], v[76:77]
	v_fmac_f64_e32 v[84:85], s[10:11], v[68:69]
	v_fmac_f64_e32 v[94:95], s[12:13], v[72:73]
	;; [unrolled: 1-line block ×3, first 2 shown]
	v_add_f64 v[72:73], v[66:67], v[78:79]
	v_fmac_f64_e32 v[2:3], -0.5, v[72:73]
	v_fma_f64 v[98:99], s[8:9], v[68:69], v[2:3]
	v_fmac_f64_e32 v[2:3], s[6:7], v[68:69]
	v_fmac_f64_e32 v[98:99], s[2:3], v[64:65]
	;; [unrolled: 1-line block ×3, first 2 shown]
	v_add_f64 v[64:65], v[4:5], v[28:29]
	v_add_f64 v[64:65], v[64:65], v[32:33]
	;; [unrolled: 1-line block ×3, first 2 shown]
	v_add_f64 v[66:67], v[70:71], -v[66:67]
	v_add_f64 v[70:71], v[74:75], -v[78:79]
	s_waitcnt lgkmcnt(0)
	v_add_f64 v[68:69], v[64:65], v[40:41]
	v_add_f64 v[64:65], v[32:33], v[36:37]
	;; [unrolled: 1-line block ×3, first 2 shown]
	v_fma_f64 v[70:71], -0.5, v[64:65], v[4:5]
	v_add_f64 v[64:65], v[30:31], -v[42:43]
	v_fmac_f64_e32 v[98:99], s[12:13], v[66:67]
	v_fmac_f64_e32 v[2:3], s[12:13], v[66:67]
	v_fma_f64 v[66:67], s[8:9], v[64:65], v[70:71]
	v_add_f64 v[72:73], v[34:35], -v[38:39]
	v_add_f64 v[74:75], v[28:29], -v[32:33]
	;; [unrolled: 1-line block ×3, first 2 shown]
	v_fmac_f64_e32 v[70:71], s[6:7], v[64:65]
	v_fmac_f64_e32 v[66:67], s[10:11], v[72:73]
	v_add_f64 v[74:75], v[74:75], v[76:77]
	v_fmac_f64_e32 v[70:71], s[2:3], v[72:73]
	v_fmac_f64_e32 v[66:67], s[12:13], v[74:75]
	;; [unrolled: 1-line block ×3, first 2 shown]
	v_add_f64 v[74:75], v[28:29], v[40:41]
	v_fmac_f64_e32 v[4:5], -0.5, v[74:75]
	v_fma_f64 v[76:77], s[6:7], v[72:73], v[4:5]
	v_fmac_f64_e32 v[4:5], s[8:9], v[72:73]
	v_fmac_f64_e32 v[76:77], s[10:11], v[64:65]
	;; [unrolled: 1-line block ×3, first 2 shown]
	v_add_f64 v[64:65], v[6:7], v[30:31]
	v_add_f64 v[74:75], v[32:33], -v[28:29]
	v_add_f64 v[78:79], v[36:37], -v[40:41]
	v_add_f64 v[64:65], v[64:65], v[34:35]
	v_add_f64 v[74:75], v[74:75], v[78:79]
	;; [unrolled: 1-line block ×3, first 2 shown]
	v_fmac_f64_e32 v[76:77], s[12:13], v[74:75]
	v_fmac_f64_e32 v[4:5], s[12:13], v[74:75]
	v_add_f64 v[74:75], v[64:65], v[42:43]
	v_add_f64 v[64:65], v[34:35], v[38:39]
	v_fma_f64 v[72:73], -0.5, v[64:65], v[6:7]
	v_add_f64 v[28:29], v[28:29], -v[40:41]
	v_fma_f64 v[78:79], s[6:7], v[28:29], v[72:73]
	v_add_f64 v[32:33], v[32:33], -v[36:37]
	v_add_f64 v[36:37], v[30:31], -v[34:35]
	;; [unrolled: 1-line block ×3, first 2 shown]
	v_fmac_f64_e32 v[72:73], s[8:9], v[28:29]
	v_fmac_f64_e32 v[78:79], s[2:3], v[32:33]
	v_add_f64 v[36:37], v[36:37], v[40:41]
	v_fmac_f64_e32 v[72:73], s[10:11], v[32:33]
	v_fmac_f64_e32 v[78:79], s[12:13], v[36:37]
	;; [unrolled: 1-line block ×3, first 2 shown]
	v_add_f64 v[36:37], v[30:31], v[42:43]
	v_fmac_f64_e32 v[6:7], -0.5, v[36:37]
	v_fma_f64 v[100:101], s[8:9], v[32:33], v[6:7]
	v_add_f64 v[30:31], v[34:35], -v[30:31]
	v_add_f64 v[34:35], v[38:39], -v[42:43]
	v_fmac_f64_e32 v[6:7], s[6:7], v[32:33]
	v_add_f64 v[30:31], v[30:31], v[34:35]
	v_fmac_f64_e32 v[6:7], s[10:11], v[28:29]
	v_fmac_f64_e32 v[100:101], s[2:3], v[28:29]
	;; [unrolled: 1-line block ×4, first 2 shown]
	v_mul_f64 v[108:109], v[6:7], s[8:9]
	v_mul_f64 v[110:111], v[72:73], s[10:11]
	;; [unrolled: 1-line block ×5, first 2 shown]
	v_fmac_f64_e32 v[108:109], s[16:17], v[4:5]
	v_fmac_f64_e32 v[110:111], s[14:15], v[70:71]
	;; [unrolled: 1-line block ×3, first 2 shown]
	v_mul_f64 v[78:79], v[100:101], s[12:13]
	v_mul_f64 v[114:115], v[6:7], s[16:17]
	;; [unrolled: 1-line block ×3, first 2 shown]
	v_fmac_f64_e32 v[104:105], s[18:19], v[66:67]
	v_fmac_f64_e32 v[106:107], s[12:13], v[76:77]
	v_add_f64 v[64:65], v[0:1], v[108:109]
	v_fmac_f64_e32 v[78:79], s[6:7], v[76:77]
	v_fmac_f64_e32 v[114:115], s[6:7], v[4:5]
	;; [unrolled: 1-line block ×3, first 2 shown]
	v_add_f64 v[76:77], v[0:1], -v[108:109]
	v_add_f64 v[0:1], v[86:87], -v[110:111]
	v_add_f64 v[36:37], v[88:89], v[68:69]
	v_add_f64 v[32:33], v[92:93], v[104:105]
	;; [unrolled: 1-line block ×9, first 2 shown]
	v_add_f64 v[72:73], v[88:89], -v[68:69]
	v_add_f64 v[68:69], v[92:93], -v[104:105]
	;; [unrolled: 1-line block ×8, first 2 shown]
	s_barrier
	ds_write_b128 v83, v[16:19]
	ds_write_b128 v83, v[12:15] offset:16
	ds_write_b128 v83, v[8:11] offset:32
	;; [unrolled: 1-line block ×19, first 2 shown]
	v_mul_lo_u16_sdwa v0, v82, s22 dst_sel:DWORD dst_unused:UNUSED_PAD src0_sel:BYTE_0 src1_sel:DWORD
	v_lshrrev_b16_e32 v101, 11, v0
	v_mul_lo_u16_e32 v0, 10, v101
	v_sub_u16_e32 v100, v82, v0
	v_mov_b32_e32 v0, 9
	v_mul_u32_u24_sdwa v0, v100, v0 dst_sel:DWORD dst_unused:UNUSED_PAD src0_sel:BYTE_0 src1_sel:DWORD
	v_lshlrev_b32_e32 v0, 4, v0
	s_waitcnt lgkmcnt(0)
	s_barrier
	global_load_dwordx4 v[16:19], v0, s[4:5]
	global_load_dwordx4 v[12:15], v0, s[4:5] offset:16
	global_load_dwordx4 v[8:11], v0, s[4:5] offset:32
	;; [unrolled: 1-line block ×7, first 2 shown]
	v_add_u32_e32 v83, 0xc8, v82
	s_mov_b32 s22, 0xcccd
	v_mul_u32_u24_sdwa v1, v83, s22 dst_sel:DWORD dst_unused:UNUSED_PAD src0_sel:WORD_0 src1_sel:DWORD
	global_load_dwordx4 v[36:39], v0, s[4:5] offset:128
	v_lshrrev_b32_e32 v103, 19, v1
	v_mul_lo_u16_e32 v1, 10, v103
	v_sub_u16_e32 v104, v83, v1
	v_mul_u32_u24_e32 v0, 9, v104
	v_lshlrev_b32_e32 v84, 4, v0
	global_load_dwordx4 v[52:55], v84, s[4:5]
	global_load_dwordx4 v[48:51], v84, s[4:5] offset:16
	global_load_dwordx4 v[44:47], v84, s[4:5] offset:32
	;; [unrolled: 1-line block ×6, first 2 shown]
	ds_read_b128 v[56:59], v102 offset:6400
	ds_read_b128 v[0:3], v102 offset:3200
	;; [unrolled: 1-line block ×6, first 2 shown]
	global_load_dwordx4 v[94:97], v84, s[4:5] offset:112
	ds_read_b128 v[106:109], v102 offset:25600
	ds_read_b128 v[110:113], v102 offset:22400
	global_load_dwordx4 v[114:117], v84, s[4:5] offset:128
	ds_read_b128 v[118:121], v102 offset:32000
	ds_read_b128 v[122:125], v102 offset:28800
	s_movk_i32 s22, 0x64
	v_cmp_gt_u32_e32 vcc, s22, v82
	s_waitcnt vmcnt(17) lgkmcnt(9)
	v_mul_f64 v[84:85], v[58:59], v[18:19]
	v_mul_f64 v[18:19], v[56:57], v[18:19]
	v_fmac_f64_e32 v[84:85], v[56:57], v[16:17]
	v_fma_f64 v[18:19], v[58:59], v[16:17], -v[18:19]
	s_waitcnt vmcnt(16) lgkmcnt(7)
	v_mul_f64 v[98:99], v[62:63], v[14:15]
	v_mul_f64 v[14:15], v[60:61], v[14:15]
	ds_read_b128 v[56:59], v102 offset:38400
	ds_read_b128 v[126:129], v102 offset:35200
	s_waitcnt vmcnt(14) lgkmcnt(5)
	v_mul_f64 v[132:133], v[108:109], v[6:7]
	v_mul_f64 v[6:7], v[106:107], v[6:7]
	v_fmac_f64_e32 v[98:99], v[60:61], v[12:13]
	v_fma_f64 v[130:131], v[62:63], v[12:13], -v[14:15]
	v_fmac_f64_e32 v[132:133], v[106:107], v[4:5]
	v_fma_f64 v[134:135], v[108:109], v[4:5], -v[6:7]
	ds_read_b128 v[60:63], v102 offset:44800
	ds_read_b128 v[106:109], v102 offset:41600
	s_waitcnt vmcnt(13) lgkmcnt(5)
	v_mul_f64 v[14:15], v[120:121], v[34:35]
	v_mul_f64 v[4:5], v[118:119], v[34:35]
	s_waitcnt vmcnt(12) lgkmcnt(3)
	v_mul_f64 v[6:7], v[56:57], v[30:31]
	v_fmac_f64_e32 v[14:15], v[118:119], v[32:33]
	v_fma_f64 v[4:5], v[120:121], v[32:33], -v[4:5]
	v_mul_f64 v[118:119], v[58:59], v[30:31]
	v_fma_f64 v[120:121], v[58:59], v[28:29], -v[6:7]
	s_waitcnt vmcnt(11) lgkmcnt(1)
	v_mul_f64 v[16:17], v[62:63], v[26:27]
	v_mul_f64 v[6:7], v[60:61], v[26:27]
	v_fmac_f64_e32 v[118:119], v[56:57], v[28:29]
	ds_read_b128 v[28:31], v102 offset:51200
	ds_read_b128 v[32:35], v102 offset:48000
	v_fmac_f64_e32 v[16:17], v[60:61], v[24:25]
	v_fma_f64 v[6:7], v[62:63], v[24:25], -v[6:7]
	ds_read_b128 v[24:27], v102 offset:57600
	v_mul_f64 v[12:13], v[74:75], v[10:11]
	v_mul_f64 v[10:11], v[72:73], v[10:11]
	v_fmac_f64_e32 v[12:13], v[72:73], v[8:9]
	v_fma_f64 v[8:9], v[74:75], v[8:9], -v[10:11]
	s_waitcnt vmcnt(10) lgkmcnt(2)
	v_mul_f64 v[136:137], v[30:31], v[22:23]
	v_mul_f64 v[10:11], v[28:29], v[22:23]
	v_fmac_f64_e32 v[136:137], v[28:29], v[20:21]
	v_fma_f64 v[138:139], v[30:31], v[20:21], -v[10:11]
	ds_read_b128 v[28:31], v102 offset:54400
	s_waitcnt vmcnt(9) lgkmcnt(1)
	v_mul_f64 v[20:21], v[26:27], v[38:39]
	v_mul_f64 v[10:11], v[24:25], v[38:39]
	s_waitcnt vmcnt(8)
	v_mul_f64 v[22:23], v[64:65], v[54:55]
	v_fmac_f64_e32 v[20:21], v[24:25], v[36:37]
	v_fma_f64 v[10:11], v[26:27], v[36:37], -v[10:11]
	v_fma_f64 v[62:63], v[66:67], v[52:53], -v[22:23]
	ds_read_b128 v[36:39], v102
	ds_read_b128 v[22:25], v102 offset:60800
	v_mul_f64 v[58:59], v[66:67], v[54:55]
	s_waitcnt vmcnt(7)
	v_mul_f64 v[26:27], v[76:77], v[50:51]
	v_fmac_f64_e32 v[58:59], v[64:65], v[52:53]
	v_fma_f64 v[64:65], v[78:79], v[48:49], -v[26:27]
	s_waitcnt vmcnt(6)
	v_mul_f64 v[52:53], v[112:113], v[46:47]
	v_mul_f64 v[26:27], v[110:111], v[46:47]
	s_waitcnt vmcnt(0) lgkmcnt(0)
	v_mul_f64 v[60:61], v[24:25], v[116:117]
	v_fmac_f64_e32 v[52:53], v[110:111], v[44:45]
	v_fma_f64 v[44:45], v[112:113], v[44:45], -v[26:27]
	v_mul_f64 v[26:27], v[122:123], v[42:43]
	v_fmac_f64_e32 v[60:61], v[22:23], v[114:115]
	v_mul_f64 v[22:23], v[22:23], v[116:117]
	v_mul_f64 v[72:73], v[78:79], v[50:51]
	v_fma_f64 v[66:67], v[124:125], v[40:41], -v[26:27]
	v_mul_f64 v[26:27], v[126:127], v[70:71]
	v_fma_f64 v[50:51], v[24:25], v[114:115], -v[22:23]
	v_add_f64 v[22:23], v[36:37], v[98:99]
	v_mul_f64 v[54:55], v[128:129], v[70:71]
	v_fma_f64 v[46:47], v[128:129], v[68:69], -v[26:27]
	v_mul_f64 v[26:27], v[106:107], v[88:89]
	v_add_f64 v[22:23], v[22:23], v[132:133]
	v_fmac_f64_e32 v[54:55], v[126:127], v[68:69]
	v_fma_f64 v[68:69], v[108:109], v[86:87], -v[26:27]
	v_mul_f64 v[26:27], v[32:33], v[92:93]
	v_add_f64 v[22:23], v[22:23], v[118:119]
	v_fmac_f64_e32 v[72:73], v[76:77], v[48:49]
	v_fma_f64 v[48:49], v[34:35], v[90:91], -v[26:27]
	v_mul_f64 v[26:27], v[28:29], v[96:97]
	v_add_f64 v[24:25], v[22:23], v[136:137]
	v_add_f64 v[22:23], v[132:133], v[118:119]
	v_mul_f64 v[56:57], v[34:35], v[92:93]
	v_mul_f64 v[78:79], v[30:31], v[96:97]
	v_fma_f64 v[70:71], v[30:31], v[94:95], -v[26:27]
	v_fma_f64 v[26:27], -0.5, v[22:23], v[36:37]
	v_add_f64 v[22:23], v[130:131], -v[138:139]
	v_fmac_f64_e32 v[56:57], v[32:33], v[90:91]
	v_fmac_f64_e32 v[78:79], v[28:29], v[94:95]
	v_fma_f64 v[28:29], s[8:9], v[22:23], v[26:27]
	v_add_f64 v[30:31], v[134:135], -v[120:121]
	v_add_f64 v[32:33], v[98:99], -v[132:133]
	v_add_f64 v[34:35], v[136:137], -v[118:119]
	v_fmac_f64_e32 v[26:27], s[6:7], v[22:23]
	v_fmac_f64_e32 v[28:29], s[10:11], v[30:31]
	v_add_f64 v[32:33], v[32:33], v[34:35]
	v_fmac_f64_e32 v[26:27], s[2:3], v[30:31]
	v_fmac_f64_e32 v[28:29], s[12:13], v[32:33]
	;; [unrolled: 1-line block ×3, first 2 shown]
	v_add_f64 v[32:33], v[98:99], v[136:137]
	v_fmac_f64_e32 v[36:37], -0.5, v[32:33]
	v_fma_f64 v[34:35], s[6:7], v[30:31], v[36:37]
	v_fmac_f64_e32 v[36:37], s[8:9], v[30:31]
	v_fmac_f64_e32 v[34:35], s[10:11], v[22:23]
	;; [unrolled: 1-line block ×3, first 2 shown]
	v_add_f64 v[22:23], v[38:39], v[130:131]
	v_add_f64 v[22:23], v[22:23], v[134:135]
	v_mul_f64 v[74:75], v[124:125], v[42:43]
	v_add_f64 v[22:23], v[22:23], v[120:121]
	v_fmac_f64_e32 v[74:75], v[122:123], v[40:41]
	v_mul_f64 v[76:77], v[108:109], v[88:89]
	v_add_f64 v[32:33], v[132:133], -v[98:99]
	v_add_f64 v[40:41], v[118:119], -v[136:137]
	v_add_f64 v[30:31], v[22:23], v[138:139]
	v_add_f64 v[22:23], v[134:135], v[120:121]
	v_fmac_f64_e32 v[76:77], v[106:107], v[86:87]
	v_add_f64 v[32:33], v[32:33], v[40:41]
	v_fma_f64 v[86:87], -0.5, v[22:23], v[38:39]
	v_add_f64 v[22:23], v[98:99], -v[136:137]
	v_fmac_f64_e32 v[34:35], s[12:13], v[32:33]
	v_fmac_f64_e32 v[36:37], s[12:13], v[32:33]
	v_fma_f64 v[42:43], s[6:7], v[22:23], v[86:87]
	v_add_f64 v[32:33], v[132:133], -v[118:119]
	v_add_f64 v[40:41], v[130:131], -v[134:135]
	;; [unrolled: 1-line block ×3, first 2 shown]
	v_fmac_f64_e32 v[86:87], s[8:9], v[22:23]
	v_fmac_f64_e32 v[42:43], s[2:3], v[32:33]
	v_add_f64 v[40:41], v[40:41], v[88:89]
	v_fmac_f64_e32 v[86:87], s[10:11], v[32:33]
	v_fmac_f64_e32 v[42:43], s[12:13], v[40:41]
	v_fmac_f64_e32 v[86:87], s[12:13], v[40:41]
	v_add_f64 v[40:41], v[130:131], v[138:139]
	v_fmac_f64_e32 v[38:39], -0.5, v[40:41]
	v_fma_f64 v[88:89], s[8:9], v[32:33], v[38:39]
	v_fmac_f64_e32 v[38:39], s[6:7], v[32:33]
	v_fmac_f64_e32 v[88:89], s[2:3], v[22:23]
	;; [unrolled: 1-line block ×3, first 2 shown]
	v_add_f64 v[22:23], v[84:85], v[12:13]
	v_add_f64 v[22:23], v[22:23], v[14:15]
	v_add_f64 v[40:41], v[134:135], -v[130:131]
	v_add_f64 v[90:91], v[120:121], -v[138:139]
	v_add_f64 v[22:23], v[22:23], v[16:17]
	v_add_f64 v[40:41], v[40:41], v[90:91]
	;; [unrolled: 1-line block ×4, first 2 shown]
	v_fmac_f64_e32 v[88:89], s[12:13], v[40:41]
	v_fmac_f64_e32 v[38:39], s[12:13], v[40:41]
	v_fma_f64 v[40:41], -0.5, v[22:23], v[84:85]
	v_add_f64 v[22:23], v[8:9], -v[10:11]
	v_fma_f64 v[90:91], s[8:9], v[22:23], v[40:41]
	v_add_f64 v[92:93], v[4:5], -v[6:7]
	v_add_f64 v[94:95], v[12:13], -v[14:15]
	;; [unrolled: 1-line block ×3, first 2 shown]
	v_fmac_f64_e32 v[40:41], s[6:7], v[22:23]
	v_fmac_f64_e32 v[90:91], s[10:11], v[92:93]
	v_add_f64 v[94:95], v[94:95], v[96:97]
	v_fmac_f64_e32 v[40:41], s[2:3], v[92:93]
	v_fmac_f64_e32 v[90:91], s[12:13], v[94:95]
	;; [unrolled: 1-line block ×3, first 2 shown]
	v_add_f64 v[94:95], v[12:13], v[20:21]
	v_fmac_f64_e32 v[84:85], -0.5, v[94:95]
	v_fma_f64 v[94:95], s[6:7], v[92:93], v[84:85]
	v_fmac_f64_e32 v[84:85], s[8:9], v[92:93]
	v_fmac_f64_e32 v[94:95], s[10:11], v[22:23]
	;; [unrolled: 1-line block ×3, first 2 shown]
	v_add_f64 v[22:23], v[18:19], v[8:9]
	v_add_f64 v[22:23], v[22:23], v[4:5]
	v_add_f64 v[96:97], v[14:15], -v[12:13]
	v_add_f64 v[98:99], v[16:17], -v[20:21]
	v_add_f64 v[22:23], v[22:23], v[6:7]
	v_add_f64 v[96:97], v[96:97], v[98:99]
	;; [unrolled: 1-line block ×4, first 2 shown]
	v_fmac_f64_e32 v[94:95], s[12:13], v[96:97]
	v_fmac_f64_e32 v[84:85], s[12:13], v[96:97]
	v_fma_f64 v[96:97], -0.5, v[22:23], v[18:19]
	v_add_f64 v[12:13], v[12:13], -v[20:21]
	v_fma_f64 v[22:23], s[6:7], v[12:13], v[96:97]
	v_add_f64 v[14:15], v[14:15], -v[16:17]
	v_add_f64 v[16:17], v[8:9], -v[4:5]
	;; [unrolled: 1-line block ×3, first 2 shown]
	v_fmac_f64_e32 v[96:97], s[8:9], v[12:13]
	v_fmac_f64_e32 v[22:23], s[2:3], v[14:15]
	v_add_f64 v[16:17], v[16:17], v[20:21]
	v_fmac_f64_e32 v[96:97], s[10:11], v[14:15]
	v_fmac_f64_e32 v[22:23], s[12:13], v[16:17]
	;; [unrolled: 1-line block ×3, first 2 shown]
	v_add_f64 v[16:17], v[8:9], v[10:11]
	v_fmac_f64_e32 v[18:19], -0.5, v[16:17]
	v_fma_f64 v[98:99], s[8:9], v[14:15], v[18:19]
	v_add_f64 v[4:5], v[4:5], -v[8:9]
	v_add_f64 v[6:7], v[6:7], -v[10:11]
	v_fmac_f64_e32 v[98:99], s[2:3], v[12:13]
	v_add_f64 v[4:5], v[4:5], v[6:7]
	v_fmac_f64_e32 v[18:19], s[6:7], v[14:15]
	v_fmac_f64_e32 v[98:99], s[12:13], v[4:5]
	;; [unrolled: 1-line block ×3, first 2 shown]
	v_mul_f64 v[106:107], v[22:23], s[10:11]
	v_mul_f64 v[114:115], v[22:23], s[18:19]
	v_fmac_f64_e32 v[18:19], s[12:13], v[4:5]
	v_fmac_f64_e32 v[106:107], s[18:19], v[90:91]
	v_mul_f64 v[108:109], v[98:99], s[8:9]
	v_fmac_f64_e32 v[114:115], s[2:3], v[90:91]
	v_mul_f64 v[90:91], v[98:99], s[12:13]
	;; [unrolled: 2-line block ×4, first 2 shown]
	v_fmac_f64_e32 v[110:111], s[16:17], v[84:85]
	v_fmac_f64_e32 v[94:95], s[6:7], v[84:85]
	v_mul_f64 v[84:85], v[96:97], s[14:15]
	v_fmac_f64_e32 v[84:85], s[2:3], v[40:41]
	v_add_f64 v[12:13], v[24:25], v[32:33]
	v_add_f64 v[4:5], v[34:35], v[108:109]
	;; [unrolled: 1-line block ×6, first 2 shown]
	v_add_f64 v[32:33], v[24:25], -v[32:33]
	v_add_f64 v[24:25], v[34:35], -v[108:109]
	;; [unrolled: 1-line block ×6, first 2 shown]
	v_add_f64 v[84:85], v[0:1], v[72:73]
	v_mul_f64 v[112:113], v[96:97], s[10:11]
	v_add_f64 v[84:85], v[84:85], v[74:75]
	v_fmac_f64_e32 v[112:113], s[14:15], v[40:41]
	v_add_f64 v[84:85], v[84:85], v[76:77]
	v_add_f64 v[20:21], v[36:37], v[110:111]
	v_add_f64 v[16:17], v[26:27], v[112:113]
	v_add_f64 v[6:7], v[88:89], v[90:91]
	v_add_f64 v[40:41], v[36:37], -v[110:111]
	v_add_f64 v[36:37], v[26:27], -v[112:113]
	v_add_f64 v[26:27], v[88:89], -v[90:91]
	v_add_f64 v[88:89], v[84:85], v[78:79]
	v_add_f64 v[84:85], v[74:75], v[76:77]
	v_fma_f64 v[86:87], -0.5, v[84:85], v[0:1]
	v_add_f64 v[84:85], v[64:65], -v[70:71]
	v_fma_f64 v[90:91], s[8:9], v[84:85], v[86:87]
	v_add_f64 v[92:93], v[66:67], -v[68:69]
	v_add_f64 v[94:95], v[72:73], -v[74:75]
	;; [unrolled: 1-line block ×3, first 2 shown]
	v_fmac_f64_e32 v[86:87], s[6:7], v[84:85]
	v_fmac_f64_e32 v[90:91], s[10:11], v[92:93]
	v_add_f64 v[94:95], v[94:95], v[96:97]
	v_fmac_f64_e32 v[86:87], s[2:3], v[92:93]
	v_fmac_f64_e32 v[90:91], s[12:13], v[94:95]
	;; [unrolled: 1-line block ×3, first 2 shown]
	v_add_f64 v[94:95], v[72:73], v[78:79]
	v_fmac_f64_e32 v[0:1], -0.5, v[94:95]
	v_fma_f64 v[94:95], s[6:7], v[92:93], v[0:1]
	v_fmac_f64_e32 v[0:1], s[8:9], v[92:93]
	v_fmac_f64_e32 v[94:95], s[10:11], v[84:85]
	;; [unrolled: 1-line block ×3, first 2 shown]
	v_add_f64 v[84:85], v[2:3], v[64:65]
	v_add_f64 v[84:85], v[84:85], v[66:67]
	;; [unrolled: 1-line block ×3, first 2 shown]
	v_add_f64 v[96:97], v[74:75], -v[72:73]
	v_add_f64 v[98:99], v[76:77], -v[78:79]
	v_add_f64 v[92:93], v[84:85], v[70:71]
	v_add_f64 v[84:85], v[66:67], v[68:69]
	;; [unrolled: 1-line block ×3, first 2 shown]
	v_fma_f64 v[84:85], -0.5, v[84:85], v[2:3]
	v_add_f64 v[72:73], v[72:73], -v[78:79]
	v_fmac_f64_e32 v[94:95], s[12:13], v[96:97]
	v_fmac_f64_e32 v[0:1], s[12:13], v[96:97]
	v_fma_f64 v[78:79], s[6:7], v[72:73], v[84:85]
	v_add_f64 v[74:75], v[74:75], -v[76:77]
	v_add_f64 v[76:77], v[64:65], -v[66:67]
	v_add_f64 v[96:97], v[70:71], -v[68:69]
	v_fmac_f64_e32 v[84:85], s[8:9], v[72:73]
	v_fmac_f64_e32 v[78:79], s[2:3], v[74:75]
	v_add_f64 v[76:77], v[76:77], v[96:97]
	v_fmac_f64_e32 v[84:85], s[10:11], v[74:75]
	v_fmac_f64_e32 v[78:79], s[12:13], v[76:77]
	;; [unrolled: 1-line block ×3, first 2 shown]
	v_add_f64 v[76:77], v[64:65], v[70:71]
	v_add_f64 v[64:65], v[66:67], -v[64:65]
	v_add_f64 v[66:67], v[68:69], -v[70:71]
	v_fmac_f64_e32 v[2:3], -0.5, v[76:77]
	v_add_f64 v[64:65], v[64:65], v[66:67]
	v_add_f64 v[66:67], v[54:55], v[56:57]
	v_fma_f64 v[98:99], s[8:9], v[74:75], v[2:3]
	v_fmac_f64_e32 v[2:3], s[6:7], v[74:75]
	v_fma_f64 v[66:67], -0.5, v[66:67], v[58:59]
	v_add_f64 v[68:69], v[44:45], -v[50:51]
	v_fmac_f64_e32 v[98:99], s[2:3], v[72:73]
	v_fmac_f64_e32 v[2:3], s[10:11], v[72:73]
	v_fma_f64 v[70:71], s[8:9], v[68:69], v[66:67]
	v_add_f64 v[72:73], v[46:47], -v[48:49]
	v_add_f64 v[74:75], v[52:53], -v[54:55]
	v_add_f64 v[76:77], v[60:61], -v[56:57]
	v_fmac_f64_e32 v[66:67], s[6:7], v[68:69]
	v_fmac_f64_e32 v[70:71], s[10:11], v[72:73]
	v_add_f64 v[74:75], v[74:75], v[76:77]
	v_fmac_f64_e32 v[66:67], s[2:3], v[72:73]
	v_fmac_f64_e32 v[70:71], s[12:13], v[74:75]
	;; [unrolled: 1-line block ×3, first 2 shown]
	v_add_f64 v[74:75], v[52:53], v[60:61]
	v_fmac_f64_e32 v[98:99], s[12:13], v[64:65]
	v_fmac_f64_e32 v[2:3], s[12:13], v[64:65]
	v_add_f64 v[64:65], v[58:59], v[52:53]
	v_fmac_f64_e32 v[58:59], -0.5, v[74:75]
	v_fma_f64 v[74:75], s[6:7], v[72:73], v[58:59]
	v_fmac_f64_e32 v[58:59], s[8:9], v[72:73]
	v_fmac_f64_e32 v[74:75], s[10:11], v[68:69]
	v_fmac_f64_e32 v[58:59], s[2:3], v[68:69]
	v_add_f64 v[68:69], v[62:63], v[44:45]
	v_add_f64 v[68:69], v[68:69], v[46:47]
	;; [unrolled: 1-line block ×4, first 2 shown]
	v_add_f64 v[28:29], v[28:29], -v[106:107]
	v_add_f64 v[64:65], v[64:65], v[54:55]
	v_add_f64 v[106:107], v[68:69], v[50:51]
	;; [unrolled: 1-line block ×4, first 2 shown]
	v_add_f64 v[76:77], v[54:55], -v[52:53]
	v_fma_f64 v[68:69], -0.5, v[68:69], v[62:63]
	v_add_f64 v[52:53], v[52:53], -v[60:61]
	v_add_f64 v[64:65], v[64:65], v[60:61]
	v_add_f64 v[96:97], v[56:57], -v[60:61]
	v_fma_f64 v[72:73], s[6:7], v[52:53], v[68:69]
	v_add_f64 v[54:55], v[54:55], -v[56:57]
	v_add_f64 v[56:57], v[44:45], -v[46:47]
	;; [unrolled: 1-line block ×3, first 2 shown]
	v_fmac_f64_e32 v[68:69], s[8:9], v[52:53]
	v_fmac_f64_e32 v[72:73], s[2:3], v[54:55]
	v_add_f64 v[56:57], v[56:57], v[60:61]
	v_fmac_f64_e32 v[68:69], s[10:11], v[54:55]
	v_fmac_f64_e32 v[72:73], s[12:13], v[56:57]
	;; [unrolled: 1-line block ×3, first 2 shown]
	v_add_f64 v[56:57], v[44:45], v[50:51]
	v_add_f64 v[76:77], v[76:77], v[96:97]
	v_fmac_f64_e32 v[62:63], -0.5, v[56:57]
	v_fmac_f64_e32 v[74:75], s[12:13], v[76:77]
	v_fmac_f64_e32 v[58:59], s[12:13], v[76:77]
	v_fma_f64 v[76:77], s[8:9], v[54:55], v[62:63]
	v_add_f64 v[44:45], v[46:47], -v[44:45]
	v_add_f64 v[46:47], v[48:49], -v[50:51]
	v_fmac_f64_e32 v[62:63], s[6:7], v[54:55]
	v_add_f64 v[44:45], v[44:45], v[46:47]
	v_fmac_f64_e32 v[62:63], s[10:11], v[52:53]
	v_fmac_f64_e32 v[62:63], s[12:13], v[44:45]
	v_mul_f64 v[116:117], v[72:73], s[18:19]
	v_mul_f64 v[120:121], v[62:63], s[16:17]
	;; [unrolled: 1-line block ×5, first 2 shown]
	v_fmac_f64_e32 v[116:117], s[2:3], v[70:71]
	v_fmac_f64_e32 v[120:121], s[6:7], v[58:59]
	;; [unrolled: 1-line block ×5, first 2 shown]
	v_add_f64 v[50:51], v[78:79], v[116:117]
	v_add_f64 v[62:63], v[2:3], v[120:121]
	;; [unrolled: 1-line block ×3, first 2 shown]
	v_add_f64 v[70:71], v[78:79], -v[116:117]
	v_add_f64 v[78:79], v[2:3], -v[120:121]
	;; [unrolled: 1-line block ×3, first 2 shown]
	v_mov_b32_e32 v85, 4
	v_fmac_f64_e32 v[76:77], s[2:3], v[52:53]
	v_mul_u32_u24_e32 v84, 0x640, v101
	v_lshlrev_b32_sdwa v85, v85, v100 dst_sel:DWORD dst_unused:UNUSED_PAD src0_sel:DWORD src1_sel:BYTE_0
	v_fmac_f64_e32 v[76:77], s[12:13], v[44:45]
	v_mul_f64 v[114:115], v[68:69], s[10:11]
	v_add3_u32 v84, 0, v84, v85
	v_mul_f64 v[110:111], v[76:77], s[8:9]
	v_fmac_f64_e32 v[114:115], s[14:15], v[66:67]
	v_mul_f64 v[118:119], v[76:77], s[12:13]
	s_barrier
	ds_write_b128 v84, v[12:15]
	ds_write_b128 v84, v[8:11] offset:160
	ds_write_b128 v84, v[4:7] offset:320
	ds_write_b128 v84, v[20:23] offset:480
	ds_write_b128 v84, v[16:19] offset:640
	ds_write_b128 v84, v[32:35] offset:800
	ds_write_b128 v84, v[28:31] offset:960
	ds_write_b128 v84, v[24:27] offset:1120
	ds_write_b128 v84, v[40:43] offset:1280
	ds_write_b128 v84, v[36:39] offset:1440
	v_mul_u32_u24_e32 v4, 0x640, v103
	v_lshlrev_b32_e32 v5, 4, v104
	v_add_f64 v[52:53], v[88:89], v[64:65]
	v_fmac_f64_e32 v[110:111], s[12:13], v[74:75]
	v_add_f64 v[60:61], v[0:1], v[112:113]
	v_add_f64 v[54:55], v[92:93], v[106:107]
	v_fmac_f64_e32 v[118:119], s[6:7], v[74:75]
	v_add_f64 v[76:77], v[0:1], -v[112:113]
	v_add_f64 v[0:1], v[86:87], -v[114:115]
	v_add3_u32 v4, 0, v4, v5
	v_add_f64 v[48:49], v[90:91], v[108:109]
	v_add_f64 v[44:45], v[94:95], v[110:111]
	;; [unrolled: 1-line block ×4, first 2 shown]
	v_add_f64 v[72:73], v[88:89], -v[64:65]
	v_add_f64 v[68:69], v[90:91], -v[108:109]
	;; [unrolled: 1-line block ×5, first 2 shown]
	ds_write_b128 v4, v[52:55]
	ds_write_b128 v4, v[48:51] offset:160
	ds_write_b128 v4, v[44:47] offset:320
	;; [unrolled: 1-line block ×9, first 2 shown]
	v_add_u32_e32 v0, 0xffffff9c, v82
	v_cndmask_b32_e32 v103, v0, v82, vcc
	v_mul_i32_i24_e32 v84, 9, v103
	v_mov_b32_e32 v85, 0
	v_lshl_add_u64 v[0:1], v[84:85], 4, s[4:5]
	s_waitcnt lgkmcnt(0)
	s_barrier
	global_load_dwordx4 v[16:19], v[0:1], off offset:1440
	global_load_dwordx4 v[12:15], v[0:1], off offset:1456
	;; [unrolled: 1-line block ×8, first 2 shown]
	v_lshrrev_b16_e32 v2, 2, v83
	v_mul_u32_u24_e32 v2, 0x147b, v2
	global_load_dwordx4 v[36:39], v[0:1], off offset:1568
	v_lshrrev_b32_e32 v84, 17, v2
	v_mul_lo_u16_e32 v2, 0x64, v84
	v_sub_u16_e32 v83, v83, v2
	v_mul_u32_u24_e32 v0, 9, v83
	v_lshlrev_b32_e32 v86, 4, v0
	global_load_dwordx4 v[52:55], v86, s[4:5] offset:1440
	global_load_dwordx4 v[48:51], v86, s[4:5] offset:1456
	;; [unrolled: 1-line block ×7, first 2 shown]
	ds_read_b128 v[56:59], v102 offset:6400
	ds_read_b128 v[0:3], v102 offset:3200
	;; [unrolled: 1-line block ×6, first 2 shown]
	global_load_dwordx4 v[96:99], v86, s[4:5] offset:1552
	ds_read_b128 v[104:107], v102 offset:25600
	ds_read_b128 v[108:111], v102 offset:22400
	global_load_dwordx4 v[112:115], v86, s[4:5] offset:1568
	ds_read_b128 v[116:119], v102 offset:32000
	ds_read_b128 v[120:123], v102 offset:28800
	s_waitcnt vmcnt(17) lgkmcnt(9)
	v_mul_f64 v[86:87], v[58:59], v[18:19]
	v_mul_f64 v[18:19], v[56:57], v[18:19]
	v_fmac_f64_e32 v[86:87], v[56:57], v[16:17]
	v_fma_f64 v[18:19], v[58:59], v[16:17], -v[18:19]
	s_waitcnt vmcnt(16) lgkmcnt(7)
	v_mul_f64 v[100:101], v[62:63], v[14:15]
	v_mul_f64 v[14:15], v[60:61], v[14:15]
	ds_read_b128 v[56:59], v102 offset:38400
	ds_read_b128 v[124:127], v102 offset:35200
	s_waitcnt vmcnt(14) lgkmcnt(5)
	v_mul_f64 v[130:131], v[106:107], v[6:7]
	v_mul_f64 v[6:7], v[104:105], v[6:7]
	v_fmac_f64_e32 v[100:101], v[60:61], v[12:13]
	v_fma_f64 v[128:129], v[62:63], v[12:13], -v[14:15]
	v_fmac_f64_e32 v[130:131], v[104:105], v[4:5]
	v_fma_f64 v[132:133], v[106:107], v[4:5], -v[6:7]
	ds_read_b128 v[60:63], v102 offset:44800
	ds_read_b128 v[104:107], v102 offset:41600
	s_waitcnt vmcnt(13) lgkmcnt(5)
	v_mul_f64 v[14:15], v[118:119], v[34:35]
	v_mul_f64 v[4:5], v[116:117], v[34:35]
	s_waitcnt vmcnt(12) lgkmcnt(3)
	v_mul_f64 v[6:7], v[56:57], v[30:31]
	v_fmac_f64_e32 v[14:15], v[116:117], v[32:33]
	v_fma_f64 v[4:5], v[118:119], v[32:33], -v[4:5]
	v_mul_f64 v[116:117], v[58:59], v[30:31]
	v_fma_f64 v[118:119], v[58:59], v[28:29], -v[6:7]
	s_waitcnt vmcnt(11) lgkmcnt(1)
	v_mul_f64 v[16:17], v[62:63], v[26:27]
	v_mul_f64 v[6:7], v[60:61], v[26:27]
	v_fmac_f64_e32 v[116:117], v[56:57], v[28:29]
	ds_read_b128 v[28:31], v102 offset:51200
	ds_read_b128 v[32:35], v102 offset:48000
	v_fmac_f64_e32 v[16:17], v[60:61], v[24:25]
	v_fma_f64 v[6:7], v[62:63], v[24:25], -v[6:7]
	ds_read_b128 v[24:27], v102 offset:57600
	v_mul_f64 v[12:13], v[74:75], v[10:11]
	v_mul_f64 v[10:11], v[72:73], v[10:11]
	v_fmac_f64_e32 v[12:13], v[72:73], v[8:9]
	v_fma_f64 v[8:9], v[74:75], v[8:9], -v[10:11]
	s_waitcnt vmcnt(10) lgkmcnt(2)
	v_mul_f64 v[134:135], v[30:31], v[22:23]
	v_mul_f64 v[10:11], v[28:29], v[22:23]
	v_fmac_f64_e32 v[134:135], v[28:29], v[20:21]
	v_fma_f64 v[136:137], v[30:31], v[20:21], -v[10:11]
	ds_read_b128 v[28:31], v102 offset:54400
	s_waitcnt vmcnt(9) lgkmcnt(1)
	v_mul_f64 v[20:21], v[26:27], v[38:39]
	v_mul_f64 v[10:11], v[24:25], v[38:39]
	s_waitcnt vmcnt(8)
	v_mul_f64 v[22:23], v[64:65], v[54:55]
	v_fmac_f64_e32 v[20:21], v[24:25], v[36:37]
	v_fma_f64 v[10:11], v[26:27], v[36:37], -v[10:11]
	v_fma_f64 v[62:63], v[66:67], v[52:53], -v[22:23]
	ds_read_b128 v[36:39], v102
	ds_read_b128 v[22:25], v102 offset:60800
	v_mul_f64 v[58:59], v[66:67], v[54:55]
	s_waitcnt vmcnt(7)
	v_mul_f64 v[26:27], v[76:77], v[50:51]
	v_fmac_f64_e32 v[58:59], v[64:65], v[52:53]
	v_fma_f64 v[64:65], v[78:79], v[48:49], -v[26:27]
	s_waitcnt vmcnt(6)
	v_mul_f64 v[52:53], v[110:111], v[46:47]
	v_mul_f64 v[26:27], v[108:109], v[46:47]
	s_waitcnt vmcnt(0) lgkmcnt(0)
	v_mul_f64 v[60:61], v[24:25], v[114:115]
	v_fmac_f64_e32 v[52:53], v[108:109], v[44:45]
	v_fma_f64 v[44:45], v[110:111], v[44:45], -v[26:27]
	v_mul_f64 v[26:27], v[120:121], v[42:43]
	v_fmac_f64_e32 v[60:61], v[22:23], v[112:113]
	v_mul_f64 v[22:23], v[22:23], v[114:115]
	v_mul_f64 v[72:73], v[78:79], v[50:51]
	v_fma_f64 v[66:67], v[122:123], v[40:41], -v[26:27]
	v_mul_f64 v[26:27], v[124:125], v[70:71]
	v_fma_f64 v[50:51], v[24:25], v[112:113], -v[22:23]
	v_add_f64 v[22:23], v[36:37], v[100:101]
	v_mul_f64 v[54:55], v[126:127], v[70:71]
	v_fma_f64 v[46:47], v[126:127], v[68:69], -v[26:27]
	v_mul_f64 v[26:27], v[104:105], v[90:91]
	v_add_f64 v[22:23], v[22:23], v[130:131]
	v_fmac_f64_e32 v[54:55], v[124:125], v[68:69]
	v_fma_f64 v[68:69], v[106:107], v[88:89], -v[26:27]
	v_mul_f64 v[26:27], v[32:33], v[94:95]
	v_add_f64 v[22:23], v[22:23], v[116:117]
	v_fmac_f64_e32 v[72:73], v[76:77], v[48:49]
	v_fma_f64 v[48:49], v[34:35], v[92:93], -v[26:27]
	v_mul_f64 v[26:27], v[28:29], v[98:99]
	v_add_f64 v[24:25], v[22:23], v[134:135]
	v_add_f64 v[22:23], v[130:131], v[116:117]
	v_mul_f64 v[56:57], v[34:35], v[94:95]
	v_mul_f64 v[78:79], v[30:31], v[98:99]
	v_fma_f64 v[70:71], v[30:31], v[96:97], -v[26:27]
	v_fma_f64 v[26:27], -0.5, v[22:23], v[36:37]
	v_add_f64 v[22:23], v[128:129], -v[136:137]
	v_fmac_f64_e32 v[56:57], v[32:33], v[92:93]
	v_fmac_f64_e32 v[78:79], v[28:29], v[96:97]
	v_fma_f64 v[28:29], s[8:9], v[22:23], v[26:27]
	v_add_f64 v[30:31], v[132:133], -v[118:119]
	v_add_f64 v[32:33], v[100:101], -v[130:131]
	;; [unrolled: 1-line block ×3, first 2 shown]
	v_fmac_f64_e32 v[26:27], s[6:7], v[22:23]
	v_fmac_f64_e32 v[28:29], s[10:11], v[30:31]
	v_add_f64 v[32:33], v[32:33], v[34:35]
	v_fmac_f64_e32 v[26:27], s[2:3], v[30:31]
	v_fmac_f64_e32 v[28:29], s[12:13], v[32:33]
	;; [unrolled: 1-line block ×3, first 2 shown]
	v_add_f64 v[32:33], v[100:101], v[134:135]
	v_fmac_f64_e32 v[36:37], -0.5, v[32:33]
	v_fma_f64 v[34:35], s[6:7], v[30:31], v[36:37]
	v_fmac_f64_e32 v[36:37], s[8:9], v[30:31]
	v_fmac_f64_e32 v[34:35], s[10:11], v[22:23]
	;; [unrolled: 1-line block ×3, first 2 shown]
	v_add_f64 v[22:23], v[38:39], v[128:129]
	v_add_f64 v[22:23], v[22:23], v[132:133]
	v_mul_f64 v[74:75], v[122:123], v[42:43]
	v_add_f64 v[22:23], v[22:23], v[118:119]
	v_fmac_f64_e32 v[74:75], v[120:121], v[40:41]
	v_mul_f64 v[76:77], v[106:107], v[90:91]
	v_add_f64 v[32:33], v[130:131], -v[100:101]
	v_add_f64 v[40:41], v[116:117], -v[134:135]
	v_add_f64 v[30:31], v[22:23], v[136:137]
	v_add_f64 v[22:23], v[132:133], v[118:119]
	v_fmac_f64_e32 v[76:77], v[104:105], v[88:89]
	v_add_f64 v[32:33], v[32:33], v[40:41]
	v_fma_f64 v[88:89], -0.5, v[22:23], v[38:39]
	v_add_f64 v[22:23], v[100:101], -v[134:135]
	v_fmac_f64_e32 v[34:35], s[12:13], v[32:33]
	v_fmac_f64_e32 v[36:37], s[12:13], v[32:33]
	v_fma_f64 v[42:43], s[6:7], v[22:23], v[88:89]
	v_add_f64 v[32:33], v[130:131], -v[116:117]
	v_add_f64 v[40:41], v[128:129], -v[132:133]
	;; [unrolled: 1-line block ×3, first 2 shown]
	v_fmac_f64_e32 v[88:89], s[8:9], v[22:23]
	v_fmac_f64_e32 v[42:43], s[2:3], v[32:33]
	v_add_f64 v[40:41], v[40:41], v[90:91]
	v_fmac_f64_e32 v[88:89], s[10:11], v[32:33]
	v_fmac_f64_e32 v[42:43], s[12:13], v[40:41]
	;; [unrolled: 1-line block ×3, first 2 shown]
	v_add_f64 v[40:41], v[128:129], v[136:137]
	v_fmac_f64_e32 v[38:39], -0.5, v[40:41]
	v_fma_f64 v[90:91], s[8:9], v[32:33], v[38:39]
	v_fmac_f64_e32 v[38:39], s[6:7], v[32:33]
	v_fmac_f64_e32 v[90:91], s[2:3], v[22:23]
	v_fmac_f64_e32 v[38:39], s[10:11], v[22:23]
	v_add_f64 v[22:23], v[86:87], v[12:13]
	v_add_f64 v[22:23], v[22:23], v[14:15]
	v_add_f64 v[40:41], v[132:133], -v[128:129]
	v_add_f64 v[92:93], v[118:119], -v[136:137]
	v_add_f64 v[22:23], v[22:23], v[16:17]
	v_add_f64 v[40:41], v[40:41], v[92:93]
	;; [unrolled: 1-line block ×4, first 2 shown]
	v_fmac_f64_e32 v[90:91], s[12:13], v[40:41]
	v_fmac_f64_e32 v[38:39], s[12:13], v[40:41]
	v_fma_f64 v[40:41], -0.5, v[22:23], v[86:87]
	v_add_f64 v[22:23], v[8:9], -v[10:11]
	v_fma_f64 v[92:93], s[8:9], v[22:23], v[40:41]
	v_add_f64 v[94:95], v[4:5], -v[6:7]
	v_add_f64 v[96:97], v[12:13], -v[14:15]
	;; [unrolled: 1-line block ×3, first 2 shown]
	v_fmac_f64_e32 v[40:41], s[6:7], v[22:23]
	v_fmac_f64_e32 v[92:93], s[10:11], v[94:95]
	v_add_f64 v[96:97], v[96:97], v[98:99]
	v_fmac_f64_e32 v[40:41], s[2:3], v[94:95]
	v_fmac_f64_e32 v[92:93], s[12:13], v[96:97]
	;; [unrolled: 1-line block ×3, first 2 shown]
	v_add_f64 v[96:97], v[12:13], v[20:21]
	v_fmac_f64_e32 v[86:87], -0.5, v[96:97]
	v_fma_f64 v[96:97], s[6:7], v[94:95], v[86:87]
	v_fmac_f64_e32 v[86:87], s[8:9], v[94:95]
	v_fmac_f64_e32 v[96:97], s[10:11], v[22:23]
	;; [unrolled: 1-line block ×3, first 2 shown]
	v_add_f64 v[22:23], v[18:19], v[8:9]
	v_add_f64 v[22:23], v[22:23], v[4:5]
	v_add_f64 v[98:99], v[14:15], -v[12:13]
	v_add_f64 v[100:101], v[16:17], -v[20:21]
	v_add_f64 v[22:23], v[22:23], v[6:7]
	v_add_f64 v[98:99], v[98:99], v[100:101]
	;; [unrolled: 1-line block ×4, first 2 shown]
	v_fmac_f64_e32 v[96:97], s[12:13], v[98:99]
	v_fmac_f64_e32 v[86:87], s[12:13], v[98:99]
	v_fma_f64 v[98:99], -0.5, v[22:23], v[18:19]
	v_add_f64 v[12:13], v[12:13], -v[20:21]
	v_fma_f64 v[22:23], s[6:7], v[12:13], v[98:99]
	v_add_f64 v[14:15], v[14:15], -v[16:17]
	v_add_f64 v[16:17], v[8:9], -v[4:5]
	;; [unrolled: 1-line block ×3, first 2 shown]
	v_fmac_f64_e32 v[98:99], s[8:9], v[12:13]
	v_fmac_f64_e32 v[22:23], s[2:3], v[14:15]
	v_add_f64 v[16:17], v[16:17], v[20:21]
	v_fmac_f64_e32 v[98:99], s[10:11], v[14:15]
	v_fmac_f64_e32 v[22:23], s[12:13], v[16:17]
	;; [unrolled: 1-line block ×3, first 2 shown]
	v_add_f64 v[16:17], v[8:9], v[10:11]
	v_fmac_f64_e32 v[18:19], -0.5, v[16:17]
	v_fma_f64 v[100:101], s[8:9], v[14:15], v[18:19]
	v_add_f64 v[4:5], v[4:5], -v[8:9]
	v_add_f64 v[6:7], v[6:7], -v[10:11]
	v_fmac_f64_e32 v[100:101], s[2:3], v[12:13]
	v_add_f64 v[4:5], v[4:5], v[6:7]
	v_fmac_f64_e32 v[18:19], s[6:7], v[14:15]
	v_fmac_f64_e32 v[100:101], s[12:13], v[4:5]
	;; [unrolled: 1-line block ×3, first 2 shown]
	v_mul_f64 v[104:105], v[22:23], s[10:11]
	v_mul_f64 v[112:113], v[22:23], s[18:19]
	v_fmac_f64_e32 v[18:19], s[12:13], v[4:5]
	v_fmac_f64_e32 v[104:105], s[18:19], v[92:93]
	v_mul_f64 v[106:107], v[100:101], s[8:9]
	v_fmac_f64_e32 v[112:113], s[2:3], v[92:93]
	v_mul_f64 v[92:93], v[100:101], s[12:13]
	;; [unrolled: 2-line block ×4, first 2 shown]
	v_fmac_f64_e32 v[108:109], s[16:17], v[86:87]
	v_fmac_f64_e32 v[96:97], s[6:7], v[86:87]
	v_mul_f64 v[86:87], v[98:99], s[14:15]
	v_fmac_f64_e32 v[86:87], s[2:3], v[40:41]
	v_add_f64 v[12:13], v[24:25], v[32:33]
	v_add_f64 v[4:5], v[34:35], v[106:107]
	;; [unrolled: 1-line block ×6, first 2 shown]
	v_add_f64 v[32:33], v[24:25], -v[32:33]
	v_add_f64 v[24:25], v[34:35], -v[106:107]
	;; [unrolled: 1-line block ×6, first 2 shown]
	v_add_f64 v[86:87], v[0:1], v[72:73]
	v_mul_f64 v[110:111], v[98:99], s[10:11]
	v_add_f64 v[86:87], v[86:87], v[74:75]
	v_fmac_f64_e32 v[110:111], s[14:15], v[40:41]
	v_add_f64 v[86:87], v[86:87], v[76:77]
	v_add_f64 v[20:21], v[36:37], v[108:109]
	;; [unrolled: 1-line block ×4, first 2 shown]
	v_add_f64 v[40:41], v[36:37], -v[108:109]
	v_add_f64 v[36:37], v[26:27], -v[110:111]
	;; [unrolled: 1-line block ×3, first 2 shown]
	v_add_f64 v[90:91], v[86:87], v[78:79]
	v_add_f64 v[86:87], v[74:75], v[76:77]
	v_fma_f64 v[88:89], -0.5, v[86:87], v[0:1]
	v_add_f64 v[86:87], v[64:65], -v[70:71]
	v_fma_f64 v[92:93], s[8:9], v[86:87], v[88:89]
	v_add_f64 v[94:95], v[66:67], -v[68:69]
	v_add_f64 v[96:97], v[72:73], -v[74:75]
	;; [unrolled: 1-line block ×3, first 2 shown]
	v_fmac_f64_e32 v[88:89], s[6:7], v[86:87]
	v_fmac_f64_e32 v[92:93], s[10:11], v[94:95]
	v_add_f64 v[96:97], v[96:97], v[98:99]
	v_fmac_f64_e32 v[88:89], s[2:3], v[94:95]
	v_fmac_f64_e32 v[92:93], s[12:13], v[96:97]
	;; [unrolled: 1-line block ×3, first 2 shown]
	v_add_f64 v[96:97], v[72:73], v[78:79]
	v_fmac_f64_e32 v[0:1], -0.5, v[96:97]
	v_fma_f64 v[96:97], s[6:7], v[94:95], v[0:1]
	v_fmac_f64_e32 v[0:1], s[8:9], v[94:95]
	v_fmac_f64_e32 v[96:97], s[10:11], v[86:87]
	;; [unrolled: 1-line block ×3, first 2 shown]
	v_add_f64 v[86:87], v[2:3], v[64:65]
	v_add_f64 v[86:87], v[86:87], v[66:67]
	;; [unrolled: 1-line block ×3, first 2 shown]
	v_add_f64 v[98:99], v[74:75], -v[72:73]
	v_add_f64 v[100:101], v[76:77], -v[78:79]
	v_add_f64 v[94:95], v[86:87], v[70:71]
	v_add_f64 v[86:87], v[66:67], v[68:69]
	;; [unrolled: 1-line block ×3, first 2 shown]
	v_fma_f64 v[86:87], -0.5, v[86:87], v[2:3]
	v_add_f64 v[72:73], v[72:73], -v[78:79]
	v_fmac_f64_e32 v[96:97], s[12:13], v[98:99]
	v_fmac_f64_e32 v[0:1], s[12:13], v[98:99]
	v_fma_f64 v[78:79], s[6:7], v[72:73], v[86:87]
	v_add_f64 v[74:75], v[74:75], -v[76:77]
	v_add_f64 v[76:77], v[64:65], -v[66:67]
	;; [unrolled: 1-line block ×3, first 2 shown]
	v_fmac_f64_e32 v[86:87], s[8:9], v[72:73]
	v_fmac_f64_e32 v[78:79], s[2:3], v[74:75]
	v_add_f64 v[76:77], v[76:77], v[98:99]
	v_fmac_f64_e32 v[86:87], s[10:11], v[74:75]
	v_fmac_f64_e32 v[78:79], s[12:13], v[76:77]
	;; [unrolled: 1-line block ×3, first 2 shown]
	v_add_f64 v[76:77], v[64:65], v[70:71]
	v_add_f64 v[64:65], v[66:67], -v[64:65]
	v_add_f64 v[66:67], v[68:69], -v[70:71]
	v_fmac_f64_e32 v[2:3], -0.5, v[76:77]
	v_add_f64 v[64:65], v[64:65], v[66:67]
	v_add_f64 v[66:67], v[54:55], v[56:57]
	v_fma_f64 v[100:101], s[8:9], v[74:75], v[2:3]
	v_fmac_f64_e32 v[2:3], s[6:7], v[74:75]
	v_fma_f64 v[66:67], -0.5, v[66:67], v[58:59]
	v_add_f64 v[68:69], v[44:45], -v[50:51]
	v_fmac_f64_e32 v[100:101], s[2:3], v[72:73]
	v_fmac_f64_e32 v[2:3], s[10:11], v[72:73]
	v_fma_f64 v[70:71], s[8:9], v[68:69], v[66:67]
	v_add_f64 v[72:73], v[46:47], -v[48:49]
	v_add_f64 v[74:75], v[52:53], -v[54:55]
	v_add_f64 v[76:77], v[60:61], -v[56:57]
	v_fmac_f64_e32 v[66:67], s[6:7], v[68:69]
	v_fmac_f64_e32 v[70:71], s[10:11], v[72:73]
	v_add_f64 v[74:75], v[74:75], v[76:77]
	v_fmac_f64_e32 v[66:67], s[2:3], v[72:73]
	v_fmac_f64_e32 v[70:71], s[12:13], v[74:75]
	;; [unrolled: 1-line block ×3, first 2 shown]
	v_add_f64 v[74:75], v[52:53], v[60:61]
	v_fmac_f64_e32 v[100:101], s[12:13], v[64:65]
	v_fmac_f64_e32 v[2:3], s[12:13], v[64:65]
	v_add_f64 v[64:65], v[58:59], v[52:53]
	v_fmac_f64_e32 v[58:59], -0.5, v[74:75]
	v_fma_f64 v[74:75], s[6:7], v[72:73], v[58:59]
	v_fmac_f64_e32 v[58:59], s[8:9], v[72:73]
	v_fmac_f64_e32 v[74:75], s[10:11], v[68:69]
	;; [unrolled: 1-line block ×3, first 2 shown]
	v_add_f64 v[68:69], v[62:63], v[44:45]
	v_add_f64 v[68:69], v[68:69], v[46:47]
	;; [unrolled: 1-line block ×4, first 2 shown]
	v_add_f64 v[28:29], v[28:29], -v[104:105]
	v_add_f64 v[64:65], v[64:65], v[54:55]
	v_add_f64 v[104:105], v[68:69], v[50:51]
	;; [unrolled: 1-line block ×4, first 2 shown]
	v_add_f64 v[76:77], v[54:55], -v[52:53]
	v_fma_f64 v[68:69], -0.5, v[68:69], v[62:63]
	v_add_f64 v[52:53], v[52:53], -v[60:61]
	v_add_f64 v[64:65], v[64:65], v[60:61]
	v_add_f64 v[98:99], v[56:57], -v[60:61]
	v_fma_f64 v[72:73], s[6:7], v[52:53], v[68:69]
	v_add_f64 v[54:55], v[54:55], -v[56:57]
	v_add_f64 v[56:57], v[44:45], -v[46:47]
	;; [unrolled: 1-line block ×3, first 2 shown]
	v_fmac_f64_e32 v[68:69], s[8:9], v[52:53]
	v_fmac_f64_e32 v[72:73], s[2:3], v[54:55]
	v_add_f64 v[56:57], v[56:57], v[60:61]
	v_fmac_f64_e32 v[68:69], s[10:11], v[54:55]
	v_fmac_f64_e32 v[72:73], s[12:13], v[56:57]
	v_fmac_f64_e32 v[68:69], s[12:13], v[56:57]
	v_add_f64 v[56:57], v[44:45], v[50:51]
	v_add_f64 v[76:77], v[76:77], v[98:99]
	v_fmac_f64_e32 v[62:63], -0.5, v[56:57]
	v_fmac_f64_e32 v[74:75], s[12:13], v[76:77]
	v_fmac_f64_e32 v[58:59], s[12:13], v[76:77]
	v_fma_f64 v[76:77], s[8:9], v[54:55], v[62:63]
	v_add_f64 v[44:45], v[46:47], -v[44:45]
	v_add_f64 v[46:47], v[48:49], -v[50:51]
	v_fmac_f64_e32 v[62:63], s[6:7], v[54:55]
	v_add_f64 v[44:45], v[44:45], v[46:47]
	v_fmac_f64_e32 v[62:63], s[10:11], v[52:53]
	v_fmac_f64_e32 v[62:63], s[12:13], v[44:45]
	v_mul_f64 v[114:115], v[72:73], s[18:19]
	v_mul_f64 v[118:119], v[62:63], s[16:17]
	;; [unrolled: 1-line block ×3, first 2 shown]
	v_fmac_f64_e32 v[76:77], s[2:3], v[52:53]
	v_mul_f64 v[106:107], v[72:73], s[10:11]
	v_mul_f64 v[110:111], v[62:63], s[8:9]
	v_fmac_f64_e32 v[114:115], s[2:3], v[70:71]
	v_fmac_f64_e32 v[118:119], s[6:7], v[58:59]
	;; [unrolled: 1-line block ×3, first 2 shown]
	s_movk_i32 s2, 0x63
	v_fmac_f64_e32 v[106:107], s[18:19], v[70:71]
	v_fmac_f64_e32 v[110:111], s[16:17], v[58:59]
	v_add_f64 v[50:51], v[78:79], v[114:115]
	v_add_f64 v[62:63], v[2:3], v[118:119]
	;; [unrolled: 1-line block ×3, first 2 shown]
	v_add_f64 v[70:71], v[78:79], -v[114:115]
	v_add_f64 v[78:79], v[2:3], -v[118:119]
	;; [unrolled: 1-line block ×3, first 2 shown]
	v_mov_b32_e32 v86, 0x3e80
	v_cmp_lt_u32_e32 vcc, s2, v82
	v_lshlrev_b32_e32 v87, 4, v103
	v_fmac_f64_e32 v[76:77], s[12:13], v[44:45]
	v_cndmask_b32_e32 v86, 0, v86, vcc
	v_mul_f64 v[112:113], v[68:69], s[10:11]
	v_add3_u32 v86, 0, v86, v87
	v_mul_f64 v[108:109], v[76:77], s[8:9]
	v_fmac_f64_e32 v[112:113], s[14:15], v[66:67]
	v_mul_f64 v[116:117], v[76:77], s[12:13]
	s_barrier
	ds_write_b128 v86, v[12:15]
	ds_write_b128 v86, v[8:11] offset:1600
	ds_write_b128 v86, v[4:7] offset:3200
	;; [unrolled: 1-line block ×9, first 2 shown]
	v_mul_u32_u24_e32 v4, 0x3e80, v84
	v_lshlrev_b32_e32 v5, 4, v83
	v_add_f64 v[52:53], v[90:91], v[64:65]
	v_fmac_f64_e32 v[108:109], s[12:13], v[74:75]
	v_add_f64 v[60:61], v[0:1], v[110:111]
	v_add_f64 v[54:55], v[94:95], v[104:105]
	v_fmac_f64_e32 v[116:117], s[6:7], v[74:75]
	v_add_f64 v[76:77], v[0:1], -v[110:111]
	v_add_f64 v[0:1], v[88:89], -v[112:113]
	v_add3_u32 v4, 0, v4, v5
	v_add_f64 v[48:49], v[92:93], v[106:107]
	v_add_f64 v[44:45], v[96:97], v[108:109]
	;; [unrolled: 1-line block ×4, first 2 shown]
	v_add_f64 v[72:73], v[90:91], -v[64:65]
	v_add_f64 v[68:69], v[92:93], -v[106:107]
	;; [unrolled: 1-line block ×5, first 2 shown]
	ds_write_b128 v4, v[52:55]
	ds_write_b128 v4, v[48:51] offset:1600
	ds_write_b128 v4, v[44:47] offset:3200
	;; [unrolled: 1-line block ×9, first 2 shown]
	v_mul_u32_u24_e32 v0, 3, v82
	v_lshlrev_b32_e32 v84, 4, v0
	v_lshl_add_u64 v[36:37], s[4:5], 0, v[84:85]
	v_add_co_u32_e32 v0, vcc, s20, v36
	s_mov_b64 s[2:3], 0x3de0
	s_nop 0
	v_addc_co_u32_e32 v1, vcc, 0, v37, vcc
	v_lshl_add_u64 v[12:13], v[36:37], 0, s[2:3]
	s_waitcnt lgkmcnt(0)
	s_barrier
	global_load_dwordx4 v[0:3], v[0:1], off offset:3552
	s_nop 0
	global_load_dwordx4 v[8:11], v[12:13], off offset:16
	global_load_dwordx4 v[4:7], v[12:13], off offset:32
	v_add_co_u32_e32 v12, vcc, s21, v36
	s_mov_b64 s[6:7], 0x6360
	s_nop 0
	v_addc_co_u32_e32 v13, vcc, 0, v37, vcc
	v_lshl_add_u64 v[24:25], v[36:37], 0, s[6:7]
	s_mov_b32 s6, 0x8000
	global_load_dwordx4 v[12:15], v[12:13], off offset:864
	s_nop 0
	global_load_dwordx4 v[20:23], v[24:25], off offset:16
	global_load_dwordx4 v[16:19], v[24:25], off offset:32
	v_add_co_u32_e32 v24, vcc, s6, v36
	s_mov_b64 s[6:7], 0x88e0
	s_nop 0
	v_addc_co_u32_e32 v25, vcc, 0, v37, vcc
	v_lshl_add_u64 v[38:39], v[36:37], 0, s[6:7]
	s_mov_b32 s6, 0xa000
	global_load_dwordx4 v[28:31], v[24:25], off offset:2272
	global_load_dwordx4 v[32:35], v[38:39], off offset:16
	s_nop 0
	global_load_dwordx4 v[24:27], v[38:39], off offset:32
	v_add_co_u32_e32 v38, vcc, s6, v36
	s_mov_b64 s[6:7], 0xae60
	s_nop 0
	v_addc_co_u32_e32 v39, vcc, 0, v37, vcc
	v_lshl_add_u64 v[36:37], v[36:37], 0, s[6:7]
	v_add_u32_e32 v84, 0x9600, v84
	global_load_dwordx4 v[38:41], v[38:39], off offset:3680
	s_nop 0
	global_load_dwordx4 v[42:45], v[36:37], off offset:16
	global_load_dwordx4 v[46:49], v[36:37], off offset:32
	v_lshl_add_u64 v[36:37], s[4:5], 0, v[84:85]
	v_add_co_u32_e32 v50, vcc, s20, v36
	s_nop 1
	v_addc_co_u32_e32 v51, vcc, 0, v37, vcc
	global_load_dwordx4 v[50:53], v[50:51], off offset:3552
	v_lshl_add_u64 v[36:37], v[36:37], 0, s[2:3]
	global_load_dwordx4 v[54:57], v[36:37], off offset:16
	global_load_dwordx4 v[58:61], v[36:37], off offset:32
	ds_read_b128 v[62:65], v102 offset:16000
	ds_read_b128 v[66:69], v102 offset:19200
	;; [unrolled: 1-line block ×13, first 2 shown]
	s_waitcnt vmcnt(14) lgkmcnt(12)
	v_mul_f64 v[36:37], v[64:65], v[2:3]
	v_mul_f64 v[2:3], v[62:63], v[2:3]
	v_fmac_f64_e32 v[36:37], v[62:63], v[0:1]
	v_fma_f64 v[78:79], v[64:65], v[0:1], -v[2:3]
	ds_read_b128 v[0:3], v102 offset:28800
	s_waitcnt vmcnt(13) lgkmcnt(1)
	v_mul_f64 v[124:125], v[122:123], v[10:11]
	v_mul_f64 v[10:11], v[120:121], v[10:11]
	v_fmac_f64_e32 v[124:125], v[120:121], v[8:9]
	v_fma_f64 v[120:121], v[122:123], v[8:9], -v[10:11]
	s_waitcnt vmcnt(11)
	v_mul_f64 v[8:9], v[66:67], v[14:15]
	v_mul_f64 v[122:123], v[72:73], v[6:7]
	;; [unrolled: 1-line block ×4, first 2 shown]
	v_fma_f64 v[128:129], v[68:69], v[12:13], -v[8:9]
	s_waitcnt vmcnt(10)
	v_mul_f64 v[130:131], v[96:97], v[22:23]
	v_mul_f64 v[8:9], v[94:95], v[22:23]
	v_fmac_f64_e32 v[122:123], v[70:71], v[4:5]
	v_fma_f64 v[70:71], v[72:73], v[4:5], -v[6:7]
	ds_read_b128 v[4:7], v102 offset:9600
	ds_read_b128 v[62:65], v102 offset:12800
	v_fmac_f64_e32 v[126:127], v[66:67], v[12:13]
	v_fmac_f64_e32 v[130:131], v[94:95], v[20:21]
	v_fma_f64 v[94:95], v[96:97], v[20:21], -v[8:9]
	ds_read_b128 v[8:11], v102 offset:41600
	ds_read_b128 v[12:15], v102 offset:44800
	s_waitcnt vmcnt(9)
	v_mul_f64 v[96:97], v[76:77], v[18:19]
	v_mul_f64 v[18:19], v[74:75], v[18:19]
	v_fmac_f64_e32 v[96:97], v[74:75], v[16:17]
	v_fma_f64 v[132:133], v[76:77], v[16:17], -v[18:19]
	s_waitcnt vmcnt(8)
	v_mul_f64 v[134:135], v[106:107], v[30:31]
	v_mul_f64 v[16:17], v[104:105], v[30:31]
	v_fmac_f64_e32 v[134:135], v[104:105], v[28:29]
	v_fma_f64 v[28:29], v[106:107], v[28:29], -v[16:17]
	ds_read_b128 v[16:19], v102
	ds_read_b128 v[20:23], v102 offset:60800
	s_waitcnt vmcnt(7)
	v_mul_f64 v[30:31], v[100:101], v[34:35]
	v_mul_f64 v[34:35], v[98:99], v[34:35]
	v_fmac_f64_e32 v[30:31], v[98:99], v[32:33]
	s_waitcnt vmcnt(2) lgkmcnt(6)
	v_mul_f64 v[104:105], v[2:3], v[52:53]
	v_fmac_f64_e32 v[104:105], v[0:1], v[50:51]
	v_mul_f64 v[0:1], v[0:1], v[52:53]
	v_fma_f64 v[0:1], v[2:3], v[50:51], -v[0:1]
	s_waitcnt vmcnt(1) lgkmcnt(2)
	v_mul_f64 v[2:3], v[14:15], v[56:57]
	v_fma_f64 v[32:33], v[100:101], v[32:33], -v[34:35]
	v_mul_f64 v[34:35], v[114:115], v[26:27]
	v_mul_f64 v[26:27], v[112:113], v[26:27]
	;; [unrolled: 1-line block ×3, first 2 shown]
	v_fmac_f64_e32 v[2:3], v[12:13], v[54:55]
	v_mul_f64 v[12:13], v[12:13], v[56:57]
	v_fmac_f64_e32 v[34:35], v[112:113], v[24:25]
	v_fma_f64 v[98:99], v[114:115], v[24:25], -v[26:27]
	v_fmac_f64_e32 v[100:101], v[108:109], v[38:39]
	v_mul_f64 v[24:25], v[108:109], v[40:41]
	v_fma_f64 v[106:107], v[14:15], v[54:55], -v[12:13]
	s_waitcnt vmcnt(0) lgkmcnt(0)
	v_mul_f64 v[108:109], v[22:23], v[60:61]
	v_mul_f64 v[12:13], v[20:21], v[60:61]
	;; [unrolled: 1-line block ×3, first 2 shown]
	v_fmac_f64_e32 v[108:109], v[20:21], v[58:59]
	v_fma_f64 v[60:61], v[22:23], v[58:59], -v[12:13]
	v_add_f64 v[14:15], v[18:19], -v[120:121]
	v_add_f64 v[20:21], v[36:37], -v[122:123]
	;; [unrolled: 1-line block ×3, first 2 shown]
	v_fma_f64 v[38:39], v[110:111], v[38:39], -v[24:25]
	v_fmac_f64_e32 v[40:41], v[8:9], v[42:43]
	v_mul_f64 v[8:9], v[8:9], v[44:45]
	v_mul_f64 v[24:25], v[116:117], v[48:49]
	v_add_f64 v[12:13], v[16:17], -v[124:125]
	v_fma_f64 v[18:19], v[18:19], 2.0, -v[14:15]
	v_fma_f64 v[26:27], v[78:79], 2.0, -v[22:23]
	v_add_f64 v[72:73], v[14:15], -v[20:21]
	v_fma_f64 v[8:9], v[10:11], v[42:43], -v[8:9]
	v_fma_f64 v[42:43], v[118:119], v[46:47], -v[24:25]
	v_fma_f64 v[16:17], v[16:17], 2.0, -v[12:13]
	v_fma_f64 v[24:25], v[36:37], 2.0, -v[20:21]
	v_add_f64 v[58:59], v[18:19], -v[26:27]
	v_add_f64 v[70:71], v[12:13], v[22:23]
	v_fma_f64 v[76:77], v[14:15], 2.0, -v[72:73]
	v_add_f64 v[14:15], v[88:89], -v[94:95]
	v_add_f64 v[22:23], v[128:129], -v[132:133]
	;; [unrolled: 1-line block ×3, first 2 shown]
	v_fma_f64 v[68:69], v[18:19], 2.0, -v[58:59]
	v_fma_f64 v[74:75], v[12:13], 2.0, -v[70:71]
	v_add_f64 v[12:13], v[86:87], -v[130:131]
	v_fma_f64 v[18:19], v[88:89], 2.0, -v[14:15]
	v_add_f64 v[20:21], v[126:127], -v[96:97]
	v_fma_f64 v[26:27], v[128:129], 2.0, -v[22:23]
	v_fma_f64 v[66:67], v[16:17], 2.0, -v[56:57]
	;; [unrolled: 1-line block ×4, first 2 shown]
	v_add_f64 v[54:55], v[18:19], -v[26:27]
	v_add_f64 v[26:27], v[14:15], -v[20:21]
	;; [unrolled: 1-line block ×3, first 2 shown]
	v_add_f64 v[24:25], v[12:13], v[22:23]
	v_fma_f64 v[96:97], v[14:15], 2.0, -v[26:27]
	v_add_f64 v[14:15], v[92:93], -v[32:33]
	v_add_f64 v[32:33], v[28:29], -v[98:99]
	v_fma_f64 v[88:89], v[18:19], 2.0, -v[54:55]
	v_fma_f64 v[94:95], v[12:13], 2.0, -v[24:25]
	v_add_f64 v[12:13], v[90:91], -v[30:31]
	v_fma_f64 v[18:19], v[92:93], 2.0, -v[14:15]
	v_add_f64 v[30:31], v[134:135], -v[34:35]
	v_fma_f64 v[22:23], v[28:29], 2.0, -v[32:33]
	v_mul_f64 v[10:11], v[118:119], v[48:49]
	v_fma_f64 v[86:87], v[16:17], 2.0, -v[52:53]
	v_fma_f64 v[16:17], v[90:91], 2.0, -v[12:13]
	;; [unrolled: 1-line block ×3, first 2 shown]
	v_add_f64 v[22:23], v[18:19], -v[22:23]
	v_fmac_f64_e32 v[10:11], v[116:117], v[46:47]
	v_add_f64 v[20:21], v[16:17], -v[20:21]
	v_fma_f64 v[50:51], v[18:19], 2.0, -v[22:23]
	v_add_f64 v[18:19], v[14:15], -v[30:31]
	v_add_f64 v[28:29], v[4:5], -v[40:41]
	;; [unrolled: 1-line block ×4, first 2 shown]
	v_fma_f64 v[48:49], v[16:17], 2.0, -v[20:21]
	v_add_f64 v[16:17], v[12:13], v[32:33]
	v_fma_f64 v[46:47], v[14:15], 2.0, -v[18:19]
	v_add_f64 v[10:11], v[100:101], -v[10:11]
	v_fma_f64 v[14:15], v[38:39], 2.0, -v[8:9]
	v_add_f64 v[8:9], v[28:29], v[8:9]
	v_fma_f64 v[44:45], v[12:13], 2.0, -v[16:17]
	v_fma_f64 v[4:5], v[4:5], 2.0, -v[28:29]
	;; [unrolled: 1-line block ×4, first 2 shown]
	v_add_f64 v[28:29], v[62:63], -v[2:3]
	v_add_f64 v[12:13], v[4:5], -v[12:13]
	;; [unrolled: 1-line block ×3, first 2 shown]
	v_fma_f64 v[2:3], v[62:63], 2.0, -v[28:29]
	v_add_f64 v[62:63], v[104:105], -v[108:109]
	v_fma_f64 v[6:7], v[6:7], 2.0, -v[30:31]
	v_fma_f64 v[40:41], v[4:5], 2.0, -v[12:13]
	v_fma_f64 v[38:39], v[30:31], 2.0, -v[10:11]
	v_add_f64 v[30:31], v[64:65], -v[106:107]
	v_add_f64 v[60:61], v[0:1], -v[60:61]
	v_fma_f64 v[4:5], v[104:105], 2.0, -v[62:63]
	v_add_f64 v[14:15], v[6:7], -v[14:15]
	v_fma_f64 v[34:35], v[64:65], 2.0, -v[30:31]
	v_fma_f64 v[0:1], v[0:1], 2.0, -v[60:61]
	v_add_f64 v[4:5], v[2:3], -v[4:5]
	v_fma_f64 v[42:43], v[6:7], 2.0, -v[14:15]
	v_add_f64 v[6:7], v[34:35], -v[0:1]
	v_fma_f64 v[32:33], v[2:3], 2.0, -v[4:5]
	v_add_f64 v[0:1], v[28:29], v[60:61]
	v_add_f64 v[2:3], v[30:31], -v[62:63]
	v_fma_f64 v[34:35], v[34:35], 2.0, -v[6:7]
	v_fma_f64 v[28:29], v[28:29], 2.0, -v[0:1]
	;; [unrolled: 1-line block ×3, first 2 shown]
	s_barrier
	ds_write_b128 v102, v[66:69]
	ds_write_b128 v102, v[74:77] offset:16000
	ds_write_b128 v102, v[56:59] offset:32000
	;; [unrolled: 1-line block ×19, first 2 shown]
	s_waitcnt lgkmcnt(0)
	s_barrier
	s_and_saveexec_b64 s[2:3], s[0:1]
	s_cbranch_execz .LBB0_19
; %bb.18:
	v_lshl_add_u32 v14, v82, 4, 0
	ds_read_b128 v[0:3], v14
	v_mov_b32_e32 v83, v85
	v_lshl_add_u64 v[12:13], v[82:83], 4, v[80:81]
	ds_read_b128 v[4:7], v14 offset:60800
	ds_read_b128 v[8:11], v14 offset:3200
	v_add_u32_e32 v84, 0xc8, v82
	s_waitcnt lgkmcnt(2)
	global_store_dwordx4 v[12:13], v[0:3], off
	ds_read_b128 v[0:3], v14 offset:6400
	v_lshl_add_u64 v[12:13], v[84:85], 4, v[80:81]
	v_add_u32_e32 v84, 0x190, v82
	s_waitcnt lgkmcnt(1)
	global_store_dwordx4 v[12:13], v[8:11], off
	ds_read_b128 v[8:11], v14 offset:9600
	v_lshl_add_u64 v[12:13], v[84:85], 4, v[80:81]
	s_waitcnt lgkmcnt(1)
	global_store_dwordx4 v[12:13], v[0:3], off
	ds_read_b128 v[0:3], v14 offset:12800
	v_add_u32_e32 v84, 0x258, v82
	v_lshl_add_u64 v[12:13], v[84:85], 4, v[80:81]
	v_add_u32_e32 v84, 0x320, v82
	s_waitcnt lgkmcnt(1)
	global_store_dwordx4 v[12:13], v[8:11], off
	ds_read_b128 v[8:11], v14 offset:16000
	v_lshl_add_u64 v[12:13], v[84:85], 4, v[80:81]
	s_waitcnt lgkmcnt(1)
	global_store_dwordx4 v[12:13], v[0:3], off
	ds_read_b128 v[0:3], v14 offset:19200
	v_add_u32_e32 v84, 0x3e8, v82
	;; [unrolled: 10-line block ×4, first 2 shown]
	v_lshl_add_u64 v[12:13], v[84:85], 4, v[80:81]
	v_add_u32_e32 v84, 0x7d0, v82
	s_waitcnt lgkmcnt(1)
	global_store_dwordx4 v[12:13], v[8:11], off
	v_lshl_add_u64 v[12:13], v[84:85], 4, v[80:81]
	ds_read_b128 v[8:11], v14 offset:35200
	s_waitcnt lgkmcnt(1)
	global_store_dwordx4 v[12:13], v[0:3], off
	ds_read_b128 v[0:3], v14 offset:38400
	v_add_u32_e32 v84, 0x898, v82
	v_lshl_add_u64 v[12:13], v[84:85], 4, v[80:81]
	v_add_u32_e32 v84, 0x960, v82
	s_waitcnt lgkmcnt(1)
	global_store_dwordx4 v[12:13], v[8:11], off
	v_lshl_add_u64 v[12:13], v[84:85], 4, v[80:81]
	ds_read_b128 v[8:11], v14 offset:41600
	s_waitcnt lgkmcnt(1)
	global_store_dwordx4 v[12:13], v[0:3], off
	ds_read_b128 v[0:3], v14 offset:44800
	v_add_u32_e32 v84, 0xa28, v82
	;; [unrolled: 10-line block ×4, first 2 shown]
	v_lshl_add_u64 v[12:13], v[84:85], 4, v[80:81]
	v_add_u32_e32 v84, 0xe10, v82
	s_waitcnt lgkmcnt(1)
	global_store_dwordx4 v[12:13], v[8:11], off
	s_nop 1
	v_lshl_add_u64 v[8:9], v[84:85], 4, v[80:81]
	v_add_u32_e32 v84, 0xed8, v82
	s_waitcnt lgkmcnt(0)
	global_store_dwordx4 v[8:9], v[0:3], off
	s_nop 1
	v_lshl_add_u64 v[0:1], v[84:85], 4, v[80:81]
	global_store_dwordx4 v[0:1], v[4:7], off
.LBB0_19:
	s_endpgm
	.section	.rodata,"a",@progbits
	.p2align	6, 0x0
	.amdhsa_kernel fft_rtc_back_len4000_factors_10_10_10_4_wgs_200_tpt_200_halfLds_dp_ip_CI_unitstride_sbrr_C2R_dirReg
		.amdhsa_group_segment_fixed_size 0
		.amdhsa_private_segment_fixed_size 0
		.amdhsa_kernarg_size 88
		.amdhsa_user_sgpr_count 2
		.amdhsa_user_sgpr_dispatch_ptr 0
		.amdhsa_user_sgpr_queue_ptr 0
		.amdhsa_user_sgpr_kernarg_segment_ptr 1
		.amdhsa_user_sgpr_dispatch_id 0
		.amdhsa_user_sgpr_kernarg_preload_length 0
		.amdhsa_user_sgpr_kernarg_preload_offset 0
		.amdhsa_user_sgpr_private_segment_size 0
		.amdhsa_uses_dynamic_stack 0
		.amdhsa_enable_private_segment 0
		.amdhsa_system_sgpr_workgroup_id_x 1
		.amdhsa_system_sgpr_workgroup_id_y 0
		.amdhsa_system_sgpr_workgroup_id_z 0
		.amdhsa_system_sgpr_workgroup_info 0
		.amdhsa_system_vgpr_workitem_id 0
		.amdhsa_next_free_vgpr 140
		.amdhsa_next_free_sgpr 23
		.amdhsa_accum_offset 140
		.amdhsa_reserve_vcc 1
		.amdhsa_float_round_mode_32 0
		.amdhsa_float_round_mode_16_64 0
		.amdhsa_float_denorm_mode_32 3
		.amdhsa_float_denorm_mode_16_64 3
		.amdhsa_dx10_clamp 1
		.amdhsa_ieee_mode 1
		.amdhsa_fp16_overflow 0
		.amdhsa_tg_split 0
		.amdhsa_exception_fp_ieee_invalid_op 0
		.amdhsa_exception_fp_denorm_src 0
		.amdhsa_exception_fp_ieee_div_zero 0
		.amdhsa_exception_fp_ieee_overflow 0
		.amdhsa_exception_fp_ieee_underflow 0
		.amdhsa_exception_fp_ieee_inexact 0
		.amdhsa_exception_int_div_zero 0
	.end_amdhsa_kernel
	.text
.Lfunc_end0:
	.size	fft_rtc_back_len4000_factors_10_10_10_4_wgs_200_tpt_200_halfLds_dp_ip_CI_unitstride_sbrr_C2R_dirReg, .Lfunc_end0-fft_rtc_back_len4000_factors_10_10_10_4_wgs_200_tpt_200_halfLds_dp_ip_CI_unitstride_sbrr_C2R_dirReg
                                        ; -- End function
	.section	.AMDGPU.csdata,"",@progbits
; Kernel info:
; codeLenInByte = 14612
; NumSgprs: 29
; NumVgprs: 140
; NumAgprs: 0
; TotalNumVgprs: 140
; ScratchSize: 0
; MemoryBound: 0
; FloatMode: 240
; IeeeMode: 1
; LDSByteSize: 0 bytes/workgroup (compile time only)
; SGPRBlocks: 3
; VGPRBlocks: 17
; NumSGPRsForWavesPerEU: 29
; NumVGPRsForWavesPerEU: 140
; AccumOffset: 140
; Occupancy: 3
; WaveLimiterHint : 1
; COMPUTE_PGM_RSRC2:SCRATCH_EN: 0
; COMPUTE_PGM_RSRC2:USER_SGPR: 2
; COMPUTE_PGM_RSRC2:TRAP_HANDLER: 0
; COMPUTE_PGM_RSRC2:TGID_X_EN: 1
; COMPUTE_PGM_RSRC2:TGID_Y_EN: 0
; COMPUTE_PGM_RSRC2:TGID_Z_EN: 0
; COMPUTE_PGM_RSRC2:TIDIG_COMP_CNT: 0
; COMPUTE_PGM_RSRC3_GFX90A:ACCUM_OFFSET: 34
; COMPUTE_PGM_RSRC3_GFX90A:TG_SPLIT: 0
	.text
	.p2alignl 6, 3212836864
	.fill 256, 4, 3212836864
	.type	__hip_cuid_9a80a1f7470c8efd,@object ; @__hip_cuid_9a80a1f7470c8efd
	.section	.bss,"aw",@nobits
	.globl	__hip_cuid_9a80a1f7470c8efd
__hip_cuid_9a80a1f7470c8efd:
	.byte	0                               ; 0x0
	.size	__hip_cuid_9a80a1f7470c8efd, 1

	.ident	"AMD clang version 19.0.0git (https://github.com/RadeonOpenCompute/llvm-project roc-6.4.0 25133 c7fe45cf4b819c5991fe208aaa96edf142730f1d)"
	.section	".note.GNU-stack","",@progbits
	.addrsig
	.addrsig_sym __hip_cuid_9a80a1f7470c8efd
	.amdgpu_metadata
---
amdhsa.kernels:
  - .agpr_count:     0
    .args:
      - .actual_access:  read_only
        .address_space:  global
        .offset:         0
        .size:           8
        .value_kind:     global_buffer
      - .offset:         8
        .size:           8
        .value_kind:     by_value
      - .actual_access:  read_only
        .address_space:  global
        .offset:         16
        .size:           8
        .value_kind:     global_buffer
      - .actual_access:  read_only
        .address_space:  global
        .offset:         24
        .size:           8
        .value_kind:     global_buffer
      - .offset:         32
        .size:           8
        .value_kind:     by_value
      - .actual_access:  read_only
        .address_space:  global
        .offset:         40
        .size:           8
        .value_kind:     global_buffer
      - .actual_access:  read_only
        .address_space:  global
        .offset:         48
        .size:           8
        .value_kind:     global_buffer
      - .offset:         56
        .size:           4
        .value_kind:     by_value
      - .actual_access:  read_only
        .address_space:  global
        .offset:         64
        .size:           8
        .value_kind:     global_buffer
      - .actual_access:  read_only
        .address_space:  global
        .offset:         72
        .size:           8
        .value_kind:     global_buffer
      - .address_space:  global
        .offset:         80
        .size:           8
        .value_kind:     global_buffer
    .group_segment_fixed_size: 0
    .kernarg_segment_align: 8
    .kernarg_segment_size: 88
    .language:       OpenCL C
    .language_version:
      - 2
      - 0
    .max_flat_workgroup_size: 200
    .name:           fft_rtc_back_len4000_factors_10_10_10_4_wgs_200_tpt_200_halfLds_dp_ip_CI_unitstride_sbrr_C2R_dirReg
    .private_segment_fixed_size: 0
    .sgpr_count:     29
    .sgpr_spill_count: 0
    .symbol:         fft_rtc_back_len4000_factors_10_10_10_4_wgs_200_tpt_200_halfLds_dp_ip_CI_unitstride_sbrr_C2R_dirReg.kd
    .uniform_work_group_size: 1
    .uses_dynamic_stack: false
    .vgpr_count:     140
    .vgpr_spill_count: 0
    .wavefront_size: 64
amdhsa.target:   amdgcn-amd-amdhsa--gfx950
amdhsa.version:
  - 1
  - 2
...

	.end_amdgpu_metadata
